;; amdgpu-corpus repo=ROCm/rocFFT kind=compiled arch=gfx906 opt=O3
	.text
	.amdgcn_target "amdgcn-amd-amdhsa--gfx906"
	.amdhsa_code_object_version 6
	.protected	fft_rtc_fwd_len1890_factors_2_3_3_3_7_5_wgs_126_tpt_126_halfLds_dp_op_CI_CI_unitstride_sbrr_R2C_dirReg ; -- Begin function fft_rtc_fwd_len1890_factors_2_3_3_3_7_5_wgs_126_tpt_126_halfLds_dp_op_CI_CI_unitstride_sbrr_R2C_dirReg
	.globl	fft_rtc_fwd_len1890_factors_2_3_3_3_7_5_wgs_126_tpt_126_halfLds_dp_op_CI_CI_unitstride_sbrr_R2C_dirReg
	.p2align	8
	.type	fft_rtc_fwd_len1890_factors_2_3_3_3_7_5_wgs_126_tpt_126_halfLds_dp_op_CI_CI_unitstride_sbrr_R2C_dirReg,@function
fft_rtc_fwd_len1890_factors_2_3_3_3_7_5_wgs_126_tpt_126_halfLds_dp_op_CI_CI_unitstride_sbrr_R2C_dirReg: ; @fft_rtc_fwd_len1890_factors_2_3_3_3_7_5_wgs_126_tpt_126_halfLds_dp_op_CI_CI_unitstride_sbrr_R2C_dirReg
; %bb.0:
	s_load_dwordx4 s[8:11], s[4:5], 0x58
	s_load_dwordx4 s[12:15], s[4:5], 0x0
	;; [unrolled: 1-line block ×3, first 2 shown]
	v_mul_u32_u24_e32 v1, 0x209, v0
	v_add_u32_sdwa v5, s6, v1 dst_sel:DWORD dst_unused:UNUSED_PAD src0_sel:DWORD src1_sel:WORD_1
	v_mov_b32_e32 v3, 0
	s_waitcnt lgkmcnt(0)
	v_cmp_lt_u64_e64 s[0:1], s[14:15], 2
	v_mov_b32_e32 v1, 0
	v_mov_b32_e32 v6, v3
	s_and_b64 vcc, exec, s[0:1]
	v_mov_b32_e32 v2, 0
	s_cbranch_vccnz .LBB0_8
; %bb.1:
	s_load_dwordx2 s[0:1], s[4:5], 0x10
	s_add_u32 s2, s18, 8
	s_addc_u32 s3, s19, 0
	s_add_u32 s6, s16, 8
	v_mov_b32_e32 v1, 0
	s_addc_u32 s7, s17, 0
	v_mov_b32_e32 v2, 0
	s_waitcnt lgkmcnt(0)
	s_add_u32 s20, s0, 8
	v_mov_b32_e32 v85, v2
	s_addc_u32 s21, s1, 0
	s_mov_b64 s[22:23], 1
	v_mov_b32_e32 v84, v1
.LBB0_2:                                ; =>This Inner Loop Header: Depth=1
	s_load_dwordx2 s[24:25], s[20:21], 0x0
                                        ; implicit-def: $vgpr88_vgpr89
	s_waitcnt lgkmcnt(0)
	v_or_b32_e32 v4, s25, v6
	v_cmp_ne_u64_e32 vcc, 0, v[3:4]
	s_and_saveexec_b64 s[0:1], vcc
	s_xor_b64 s[26:27], exec, s[0:1]
	s_cbranch_execz .LBB0_4
; %bb.3:                                ;   in Loop: Header=BB0_2 Depth=1
	v_cvt_f32_u32_e32 v4, s24
	v_cvt_f32_u32_e32 v7, s25
	s_sub_u32 s0, 0, s24
	s_subb_u32 s1, 0, s25
	v_mac_f32_e32 v4, 0x4f800000, v7
	v_rcp_f32_e32 v4, v4
	v_mul_f32_e32 v4, 0x5f7ffffc, v4
	v_mul_f32_e32 v7, 0x2f800000, v4
	v_trunc_f32_e32 v7, v7
	v_mac_f32_e32 v4, 0xcf800000, v7
	v_cvt_u32_f32_e32 v7, v7
	v_cvt_u32_f32_e32 v4, v4
	v_mul_lo_u32 v8, s0, v7
	v_mul_hi_u32 v9, s0, v4
	v_mul_lo_u32 v11, s1, v4
	v_mul_lo_u32 v10, s0, v4
	v_add_u32_e32 v8, v9, v8
	v_add_u32_e32 v8, v8, v11
	v_mul_hi_u32 v9, v4, v10
	v_mul_lo_u32 v11, v4, v8
	v_mul_hi_u32 v13, v4, v8
	v_mul_hi_u32 v12, v7, v10
	v_mul_lo_u32 v10, v7, v10
	v_mul_hi_u32 v14, v7, v8
	v_add_co_u32_e32 v9, vcc, v9, v11
	v_addc_co_u32_e32 v11, vcc, 0, v13, vcc
	v_mul_lo_u32 v8, v7, v8
	v_add_co_u32_e32 v9, vcc, v9, v10
	v_addc_co_u32_e32 v9, vcc, v11, v12, vcc
	v_addc_co_u32_e32 v10, vcc, 0, v14, vcc
	v_add_co_u32_e32 v8, vcc, v9, v8
	v_addc_co_u32_e32 v9, vcc, 0, v10, vcc
	v_add_co_u32_e32 v4, vcc, v4, v8
	v_addc_co_u32_e32 v7, vcc, v7, v9, vcc
	v_mul_lo_u32 v8, s0, v7
	v_mul_hi_u32 v9, s0, v4
	v_mul_lo_u32 v10, s1, v4
	v_mul_lo_u32 v11, s0, v4
	v_add_u32_e32 v8, v9, v8
	v_add_u32_e32 v8, v8, v10
	v_mul_lo_u32 v12, v4, v8
	v_mul_hi_u32 v13, v4, v11
	v_mul_hi_u32 v14, v4, v8
	v_mul_hi_u32 v10, v7, v11
	v_mul_lo_u32 v11, v7, v11
	v_mul_hi_u32 v9, v7, v8
	v_add_co_u32_e32 v12, vcc, v13, v12
	v_addc_co_u32_e32 v13, vcc, 0, v14, vcc
	v_mul_lo_u32 v8, v7, v8
	v_add_co_u32_e32 v11, vcc, v12, v11
	v_addc_co_u32_e32 v10, vcc, v13, v10, vcc
	v_addc_co_u32_e32 v9, vcc, 0, v9, vcc
	v_add_co_u32_e32 v8, vcc, v10, v8
	v_addc_co_u32_e32 v9, vcc, 0, v9, vcc
	v_add_co_u32_e32 v4, vcc, v4, v8
	v_addc_co_u32_e32 v9, vcc, v7, v9, vcc
	v_mad_u64_u32 v[7:8], s[0:1], v5, v9, 0
	v_mul_hi_u32 v10, v5, v4
	v_add_co_u32_e32 v11, vcc, v10, v7
	v_addc_co_u32_e32 v12, vcc, 0, v8, vcc
	v_mad_u64_u32 v[7:8], s[0:1], v6, v4, 0
	v_mad_u64_u32 v[9:10], s[0:1], v6, v9, 0
	v_add_co_u32_e32 v4, vcc, v11, v7
	v_addc_co_u32_e32 v4, vcc, v12, v8, vcc
	v_addc_co_u32_e32 v7, vcc, 0, v10, vcc
	v_add_co_u32_e32 v4, vcc, v4, v9
	v_addc_co_u32_e32 v9, vcc, 0, v7, vcc
	v_mul_lo_u32 v10, s25, v4
	v_mul_lo_u32 v11, s24, v9
	v_mad_u64_u32 v[7:8], s[0:1], s24, v4, 0
	v_add3_u32 v8, v8, v11, v10
	v_sub_u32_e32 v10, v6, v8
	v_mov_b32_e32 v11, s25
	v_sub_co_u32_e32 v7, vcc, v5, v7
	v_subb_co_u32_e64 v10, s[0:1], v10, v11, vcc
	v_subrev_co_u32_e64 v11, s[0:1], s24, v7
	v_subbrev_co_u32_e64 v10, s[0:1], 0, v10, s[0:1]
	v_cmp_le_u32_e64 s[0:1], s25, v10
	v_cndmask_b32_e64 v12, 0, -1, s[0:1]
	v_cmp_le_u32_e64 s[0:1], s24, v11
	v_cndmask_b32_e64 v11, 0, -1, s[0:1]
	v_cmp_eq_u32_e64 s[0:1], s25, v10
	v_cndmask_b32_e64 v10, v12, v11, s[0:1]
	v_add_co_u32_e64 v11, s[0:1], 2, v4
	v_addc_co_u32_e64 v12, s[0:1], 0, v9, s[0:1]
	v_add_co_u32_e64 v13, s[0:1], 1, v4
	v_addc_co_u32_e64 v14, s[0:1], 0, v9, s[0:1]
	v_subb_co_u32_e32 v8, vcc, v6, v8, vcc
	v_cmp_ne_u32_e64 s[0:1], 0, v10
	v_cmp_le_u32_e32 vcc, s25, v8
	v_cndmask_b32_e64 v10, v14, v12, s[0:1]
	v_cndmask_b32_e64 v12, 0, -1, vcc
	v_cmp_le_u32_e32 vcc, s24, v7
	v_cndmask_b32_e64 v7, 0, -1, vcc
	v_cmp_eq_u32_e32 vcc, s25, v8
	v_cndmask_b32_e32 v7, v12, v7, vcc
	v_cmp_ne_u32_e32 vcc, 0, v7
	v_cndmask_b32_e64 v7, v13, v11, s[0:1]
	v_cndmask_b32_e32 v89, v9, v10, vcc
	v_cndmask_b32_e32 v88, v4, v7, vcc
.LBB0_4:                                ;   in Loop: Header=BB0_2 Depth=1
	s_andn2_saveexec_b64 s[0:1], s[26:27]
	s_cbranch_execz .LBB0_6
; %bb.5:                                ;   in Loop: Header=BB0_2 Depth=1
	v_cvt_f32_u32_e32 v4, s24
	s_sub_i32 s26, 0, s24
	v_mov_b32_e32 v89, v3
	v_rcp_iflag_f32_e32 v4, v4
	v_mul_f32_e32 v4, 0x4f7ffffe, v4
	v_cvt_u32_f32_e32 v4, v4
	v_mul_lo_u32 v7, s26, v4
	v_mul_hi_u32 v7, v4, v7
	v_add_u32_e32 v4, v4, v7
	v_mul_hi_u32 v4, v5, v4
	v_mul_lo_u32 v7, v4, s24
	v_add_u32_e32 v8, 1, v4
	v_sub_u32_e32 v7, v5, v7
	v_subrev_u32_e32 v9, s24, v7
	v_cmp_le_u32_e32 vcc, s24, v7
	v_cndmask_b32_e32 v7, v7, v9, vcc
	v_cndmask_b32_e32 v4, v4, v8, vcc
	v_add_u32_e32 v8, 1, v4
	v_cmp_le_u32_e32 vcc, s24, v7
	v_cndmask_b32_e32 v88, v4, v8, vcc
.LBB0_6:                                ;   in Loop: Header=BB0_2 Depth=1
	s_or_b64 exec, exec, s[0:1]
	v_mul_lo_u32 v4, v89, s24
	v_mul_lo_u32 v9, v88, s25
	v_mad_u64_u32 v[7:8], s[0:1], v88, s24, 0
	s_load_dwordx2 s[0:1], s[6:7], 0x0
	s_load_dwordx2 s[24:25], s[2:3], 0x0
	v_add3_u32 v4, v8, v9, v4
	v_sub_co_u32_e32 v5, vcc, v5, v7
	v_subb_co_u32_e32 v4, vcc, v6, v4, vcc
	s_waitcnt lgkmcnt(0)
	v_mul_lo_u32 v6, s0, v4
	v_mul_lo_u32 v7, s1, v5
	v_mad_u64_u32 v[1:2], s[0:1], s0, v5, v[1:2]
	v_mul_lo_u32 v4, s24, v4
	v_mul_lo_u32 v8, s25, v5
	v_mad_u64_u32 v[84:85], s[0:1], s24, v5, v[84:85]
	s_add_u32 s22, s22, 1
	s_addc_u32 s23, s23, 0
	s_add_u32 s2, s2, 8
	v_add3_u32 v85, v8, v85, v4
	s_addc_u32 s3, s3, 0
	v_mov_b32_e32 v4, s14
	s_add_u32 s6, s6, 8
	v_mov_b32_e32 v5, s15
	s_addc_u32 s7, s7, 0
	v_cmp_ge_u64_e32 vcc, s[22:23], v[4:5]
	s_add_u32 s20, s20, 8
	v_add3_u32 v2, v7, v2, v6
	s_addc_u32 s21, s21, 0
	s_cbranch_vccnz .LBB0_9
; %bb.7:                                ;   in Loop: Header=BB0_2 Depth=1
	v_mov_b32_e32 v5, v88
	v_mov_b32_e32 v6, v89
	s_branch .LBB0_2
.LBB0_8:
	v_mov_b32_e32 v85, v2
	v_mov_b32_e32 v89, v6
	;; [unrolled: 1-line block ×4, first 2 shown]
.LBB0_9:
	s_load_dwordx2 s[4:5], s[4:5], 0x28
	s_lshl_b64 s[6:7], s[14:15], 3
	s_add_u32 s2, s18, s6
	s_addc_u32 s3, s19, s7
                                        ; implicit-def: $vgpr86
                                        ; implicit-def: $vgpr90
                                        ; implicit-def: $vgpr96
                                        ; implicit-def: $vgpr95
                                        ; implicit-def: $vgpr94
                                        ; implicit-def: $vgpr93
                                        ; implicit-def: $vgpr92
	s_waitcnt lgkmcnt(0)
	v_cmp_gt_u64_e64 s[0:1], s[4:5], v[88:89]
	v_cmp_le_u64_e32 vcc, s[4:5], v[88:89]
	s_and_saveexec_b64 s[4:5], vcc
	s_xor_b64 s[4:5], exec, s[4:5]
; %bb.10:
	s_mov_b32 s14, 0x2082083
	v_mul_hi_u32 v1, v0, s14
	v_mul_u32_u24_e32 v1, 0x7e, v1
	v_sub_u32_e32 v86, v0, v1
	v_add_u32_e32 v90, 0x7e, v86
	v_add_u32_e32 v96, 0xfc, v86
	;; [unrolled: 1-line block ×6, first 2 shown]
                                        ; implicit-def: $vgpr0
                                        ; implicit-def: $vgpr1_vgpr2
; %bb.11:
	s_andn2_saveexec_b64 s[4:5], s[4:5]
	s_cbranch_execz .LBB0_13
; %bb.12:
	s_add_u32 s6, s16, s6
	s_addc_u32 s7, s17, s7
	s_load_dwordx2 s[6:7], s[6:7], 0x0
	s_mov_b32 s14, 0x2082083
	v_mul_hi_u32 v5, v0, s14
	s_waitcnt lgkmcnt(0)
	v_mul_lo_u32 v6, s7, v88
	v_mul_lo_u32 v7, s6, v89
	v_mad_u64_u32 v[3:4], s[6:7], s6, v88, 0
	v_mul_u32_u24_e32 v5, 0x7e, v5
	v_sub_u32_e32 v86, v0, v5
	v_add3_u32 v4, v4, v7, v6
	v_lshlrev_b64 v[3:4], 4, v[3:4]
	v_mov_b32_e32 v0, s9
	v_add_co_u32_e32 v3, vcc, s8, v3
	v_addc_co_u32_e32 v4, vcc, v0, v4, vcc
	v_lshlrev_b64 v[0:1], 4, v[1:2]
	v_lshlrev_b32_e32 v64, 4, v86
	v_add_co_u32_e32 v0, vcc, v3, v0
	v_addc_co_u32_e32 v1, vcc, v4, v1, vcc
	v_add_co_u32_e32 v47, vcc, v0, v64
	v_addc_co_u32_e32 v48, vcc, 0, v1, vcc
	s_movk_i32 s6, 0x1000
	v_add_co_u32_e32 v24, vcc, s6, v47
	s_movk_i32 s7, 0x2000
	v_addc_co_u32_e32 v25, vcc, 0, v48, vcc
	v_add_co_u32_e32 v32, vcc, s7, v47
	v_addc_co_u32_e32 v33, vcc, 0, v48, vcc
	s_movk_i32 s6, 0x3000
	v_add_co_u32_e32 v40, vcc, s6, v47
	s_movk_i32 s7, 0x4000
	v_addc_co_u32_e32 v41, vcc, 0, v48, vcc
	v_add_co_u32_e32 v49, vcc, s7, v47
	v_addc_co_u32_e32 v50, vcc, 0, v48, vcc
	v_add_co_u32_e32 v60, vcc, 0x5000, v47
	;; [unrolled: 2-line block ×3, first 2 shown]
	global_load_dwordx4 v[0:3], v[47:48], off
	global_load_dwordx4 v[4:7], v[47:48], off offset:2016
	global_load_dwordx4 v[8:11], v[47:48], off offset:4032
	;; [unrolled: 1-line block ×5, first 2 shown]
	s_nop 0
	global_load_dwordx4 v[24:27], v[32:33], off offset:3904
	global_load_dwordx4 v[28:31], v[40:41], off offset:1824
	s_nop 0
	global_load_dwordx4 v[32:35], v[40:41], off offset:3840
	global_load_dwordx4 v[36:39], v[49:50], off offset:1760
	;; [unrolled: 3-line block ×3, first 2 shown]
	v_addc_co_u32_e32 v63, vcc, 0, v48, vcc
	global_load_dwordx4 v[48:51], v[60:61], off offset:3712
	global_load_dwordx4 v[52:55], v[62:63], off offset:1632
	;; [unrolled: 1-line block ×3, first 2 shown]
	v_add_u32_e32 v90, 0x7e, v86
	v_add_u32_e32 v96, 0xfc, v86
	;; [unrolled: 1-line block ×7, first 2 shown]
	s_waitcnt vmcnt(14)
	ds_write_b128 v60, v[0:3]
	s_waitcnt vmcnt(13)
	ds_write_b128 v60, v[4:7] offset:2016
	s_waitcnt vmcnt(12)
	ds_write_b128 v60, v[8:11] offset:4032
	;; [unrolled: 2-line block ×14, first 2 shown]
.LBB0_13:
	s_or_b64 exec, exec, s[4:5]
	v_lshlrev_b32_e32 v87, 4, v86
	v_add_u32_e32 v98, 0, v87
	s_load_dwordx2 s[4:5], s[2:3], 0x0
	s_waitcnt lgkmcnt(0)
	s_barrier
	ds_read_b128 v[0:3], v98 offset:15120
	ds_read_b128 v[4:7], v98
	ds_read_b128 v[8:11], v98 offset:2016
	ds_read_b128 v[12:15], v98 offset:17136
	ds_read_b128 v[16:19], v98 offset:19152
	ds_read_b128 v[20:23], v98 offset:4032
	ds_read_b128 v[24:27], v98 offset:6048
	ds_read_b128 v[28:31], v98 offset:21168
	s_waitcnt lgkmcnt(6)
	v_add_f64 v[0:1], v[4:5], -v[0:1]
	v_add_f64 v[2:3], v[6:7], -v[2:3]
	s_waitcnt lgkmcnt(4)
	v_add_f64 v[12:13], v[8:9], -v[12:13]
	v_add_f64 v[14:15], v[10:11], -v[14:15]
	;; [unrolled: 3-line block ×4, first 2 shown]
	v_fma_f64 v[32:33], v[4:5], 2.0, -v[0:1]
	v_fma_f64 v[34:35], v[6:7], 2.0, -v[2:3]
	;; [unrolled: 1-line block ×4, first 2 shown]
	ds_read_b128 v[4:7], v98 offset:23184
	ds_read_b128 v[8:11], v98 offset:8064
	;; [unrolled: 1-line block ×6, first 2 shown]
	v_fma_f64 v[20:21], v[20:21], 2.0, -v[16:17]
	v_fma_f64 v[22:23], v[22:23], 2.0, -v[18:19]
	s_waitcnt lgkmcnt(4)
	v_add_f64 v[48:49], v[8:9], -v[4:5]
	v_add_f64 v[50:51], v[10:11], -v[6:7]
	s_waitcnt lgkmcnt(2)
	v_add_f64 v[44:45], v[40:41], -v[44:45]
	v_add_f64 v[46:47], v[42:43], -v[46:47]
	;; [unrolled: 3-line block ×3, first 2 shown]
	ds_read_b128 v[4:7], v98 offset:14112
	ds_read_b128 v[60:63], v98 offset:29232
	v_fma_f64 v[24:25], v[24:25], 2.0, -v[28:29]
	v_fma_f64 v[64:65], v[8:9], 2.0, -v[48:49]
	v_add_u32_e32 v9, v98, v87
	v_fma_f64 v[26:27], v[26:27], 2.0, -v[30:31]
	v_fma_f64 v[66:67], v[10:11], 2.0, -v[50:51]
	;; [unrolled: 1-line block ×6, first 2 shown]
	s_waitcnt lgkmcnt(0)
	s_barrier
	ds_write_b128 v9, v[32:35]
	ds_write_b128 v9, v[0:3] offset:16
	v_add_f64 v[0:1], v[4:5], -v[60:61]
	v_add_f64 v[2:3], v[6:7], -v[62:63]
	v_lshl_add_u32 v101, v90, 5, 0
	v_lshl_add_u32 v8, v96, 5, 0
	;; [unrolled: 1-line block ×6, first 2 shown]
	v_cmp_gt_u32_e32 vcc, 63, v86
	ds_write_b128 v101, v[36:39]
	ds_write_b128 v101, v[12:15] offset:16
	ds_write_b128 v8, v[20:23]
	ds_write_b128 v8, v[16:19] offset:16
	;; [unrolled: 2-line block ×6, first 2 shown]
	s_and_saveexec_b64 s[2:3], vcc
	s_cbranch_execz .LBB0_15
; %bb.14:
	v_fma_f64 v[6:7], v[6:7], 2.0, -v[2:3]
	v_fma_f64 v[4:5], v[4:5], 2.0, -v[0:1]
	ds_write_b128 v9, v[4:7] offset:28224
	ds_write_b128 v9, v[0:3] offset:28240
.LBB0_15:
	s_or_b64 exec, exec, s[2:3]
	v_and_b32_e32 v83, 1, v86
	v_lshlrev_b32_e32 v4, 5, v83
	s_waitcnt lgkmcnt(0)
	s_barrier
	global_load_dwordx4 v[11:14], v4, s[12:13]
	global_load_dwordx4 v[15:18], v4, s[12:13] offset:16
	ds_read_b128 v[19:22], v98 offset:22176
	ds_read_b128 v[23:26], v98 offset:24192
	;; [unrolled: 1-line block ×9, first 2 shown]
	ds_read_b128 v[55:58], v98
	v_lshlrev_b32_e32 v91, 4, v93
	v_lshrrev_b32_e32 v59, 1, v86
	v_lshlrev_b32_e32 v104, 4, v90
	v_lshlrev_b32_e32 v9, 4, v96
	;; [unrolled: 1-line block ×4, first 2 shown]
	v_sub_u32_e32 v7, v99, v91
	v_mul_u32_u24_e32 v79, 6, v59
	v_sub_u32_e32 v10, v101, v104
	v_sub_u32_e32 v4, v8, v9
	;; [unrolled: 1-line block ×4, first 2 shown]
	ds_read_b128 v[59:62], v7
	ds_read_b128 v[63:66], v10
	;; [unrolled: 1-line block ×5, first 2 shown]
	v_or_b32_e32 v79, v79, v83
	v_lshl_add_u32 v103, v79, 4, 0
	s_mov_b32 s2, 0xe8584caa
	s_mov_b32 s3, 0x3febb67a
	;; [unrolled: 1-line block ×4, first 2 shown]
	s_waitcnt vmcnt(0) lgkmcnt(0)
	s_barrier
	s_movk_i32 s8, 0xab
	v_sub_u32_e32 v9, 0, v9
	v_mul_f64 v[79:80], v[61:62], v[13:14]
	v_mul_f64 v[81:82], v[59:60], v[13:14]
	;; [unrolled: 1-line block ×20, first 2 shown]
	v_fma_f64 v[59:60], v[59:60], v[11:12], -v[79:80]
	v_fma_f64 v[61:62], v[61:62], v[11:12], v[81:82]
	v_fma_f64 v[51:52], v[51:52], v[11:12], -v[106:107]
	v_fma_f64 v[53:54], v[53:54], v[11:12], v[108:109]
	;; [unrolled: 2-line block ×10, first 2 shown]
	v_add_f64 v[15:16], v[59:60], v[11:12]
	v_add_f64 v[17:18], v[61:62], v[13:14]
	;; [unrolled: 1-line block ×4, first 2 shown]
	v_add_f64 v[35:36], v[61:62], -v[13:14]
	v_add_f64 v[39:40], v[59:60], -v[11:12]
	v_add_f64 v[47:48], v[65:66], v[53:54]
	v_add_f64 v[59:60], v[63:64], v[51:52]
	;; [unrolled: 1-line block ×6, first 2 shown]
	v_add_f64 v[118:119], v[29:30], -v[31:32]
	v_add_f64 v[120:121], v[27:28], -v[33:34]
	v_fma_f64 v[27:28], v[15:16], -0.5, v[55:56]
	v_fma_f64 v[29:30], v[17:18], -0.5, v[57:58]
	v_add_f64 v[45:46], v[53:54], v[21:22]
	v_add_f64 v[43:44], v[51:52], v[19:20]
	v_add_f64 v[53:54], v[53:54], -v[21:22]
	v_add_f64 v[51:52], v[51:52], -v[19:20]
	v_add_f64 v[11:12], v[23:24], v[11:12]
	v_add_f64 v[13:14], v[25:26], v[13:14]
	;; [unrolled: 1-line block ×4, first 2 shown]
	v_fma_f64 v[19:20], v[35:36], s[2:3], v[27:28]
	v_fma_f64 v[21:22], v[39:40], s[6:7], v[29:30]
	;; [unrolled: 1-line block ×4, first 2 shown]
	v_fma_f64 v[45:46], v[45:46], -0.5, v[65:66]
	v_fma_f64 v[43:44], v[43:44], -0.5, v[63:64]
	v_fma_f64 v[47:48], v[61:62], -0.5, v[67:68]
	ds_write_b128 v103, v[11:14]
	ds_write_b128 v103, v[19:22] offset:32
	ds_write_b128 v103, v[23:26] offset:64
	v_add_f64 v[23:24], v[79:80], v[41:42]
	v_fma_f64 v[55:56], v[112:113], -0.5, v[69:70]
	v_add_f64 v[39:40], v[81:82], v[37:38]
	v_add_f64 v[27:28], v[114:115], v[31:32]
	v_fma_f64 v[13:14], v[51:52], s[6:7], v[45:46]
	v_fma_f64 v[31:32], v[51:52], s[2:3], v[45:46]
	v_add_f64 v[51:52], v[106:107], v[110:111]
	v_fma_f64 v[11:12], v[53:54], s[2:3], v[43:44]
	v_fma_f64 v[29:30], v[53:54], s[6:7], v[43:44]
	v_add_f64 v[25:26], v[116:117], v[33:34]
	v_fma_f64 v[19:20], v[118:119], s[2:3], v[47:48]
	v_fma_f64 v[33:34], v[118:119], s[6:7], v[47:48]
	v_add_f64 v[43:44], v[73:74], v[81:82]
	v_add_f64 v[45:46], v[71:72], v[79:80]
	v_fma_f64 v[23:24], v[23:24], -0.5, v[71:72]
	v_add_f64 v[47:48], v[81:82], -v[37:38]
	v_add_f64 v[57:58], v[108:109], v[49:50]
	v_fma_f64 v[21:22], v[120:121], s[6:7], v[55:56]
	v_fma_f64 v[35:36], v[120:121], s[2:3], v[55:56]
	v_fma_f64 v[53:54], v[39:40], -0.5, v[73:74]
	v_add_f64 v[55:56], v[79:80], -v[41:42]
	v_fma_f64 v[59:60], v[51:52], -0.5, v[75:76]
	v_add_f64 v[51:52], v[77:78], v[108:109]
	v_add_f64 v[61:62], v[75:76], v[106:107]
	;; [unrolled: 1-line block ×4, first 2 shown]
	v_fma_f64 v[41:42], v[47:48], s[2:3], v[23:24]
	v_add_f64 v[63:64], v[108:109], -v[49:50]
	v_fma_f64 v[45:46], v[47:48], s[6:7], v[23:24]
	v_fma_f64 v[23:24], v[57:58], -0.5, v[77:78]
	v_add_f64 v[65:66], v[106:107], -v[110:111]
	v_fma_f64 v[43:44], v[55:56], s[6:7], v[53:54]
	v_fma_f64 v[47:48], v[55:56], s[2:3], v[53:54]
	v_lshrrev_b32_e32 v55, 1, v90
	v_add_f64 v[51:52], v[51:52], v[49:50]
	v_add_f64 v[49:50], v[61:62], v[110:111]
	v_mul_lo_u32 v61, v55, 6
	v_fma_f64 v[53:54], v[63:64], s[2:3], v[59:60]
	v_fma_f64 v[57:58], v[63:64], s[6:7], v[59:60]
	;; [unrolled: 1-line block ×4, first 2 shown]
	v_or_b32_e32 v23, v61, v83
	v_lshrrev_b32_e32 v24, 1, v96
	v_lshl_add_u32 v23, v23, 4, 0
	v_mul_lo_u32 v24, v24, 6
	ds_write_b128 v23, v[15:18]
	ds_write_b128 v23, v[11:14] offset:32
	ds_write_b128 v23, v[29:32] offset:64
	v_lshrrev_b32_e32 v12, 1, v95
	v_mul_lo_u32 v12, v12, 6
	v_or_b32_e32 v11, v24, v83
	v_lshl_add_u32 v11, v11, 4, 0
	ds_write_b128 v11, v[25:28]
	ds_write_b128 v11, v[19:22] offset:32
	ds_write_b128 v11, v[33:36] offset:64
	v_or_b32_e32 v11, v12, v83
	v_lshrrev_b32_e32 v12, 1, v94
	v_mul_lo_u32 v12, v12, 6
	v_lshl_add_u32 v11, v11, 4, 0
	ds_write_b128 v11, v[37:40]
	ds_write_b128 v11, v[41:44] offset:32
	ds_write_b128 v11, v[45:48] offset:64
	v_mul_lo_u16_sdwa v20, v90, s8 dst_sel:DWORD dst_unused:UNUSED_PAD src0_sel:BYTE_0 src1_sel:DWORD
	v_or_b32_e32 v11, v12, v83
	v_lshl_add_u32 v11, v11, 4, 0
	ds_write_b128 v11, v[49:52]
	ds_write_b128 v11, v[53:56] offset:32
	ds_write_b128 v11, v[57:60] offset:64
	v_mul_lo_u16_sdwa v11, v86, s8 dst_sel:DWORD dst_unused:UNUSED_PAD src0_sel:BYTE_0 src1_sel:DWORD
	v_lshrrev_b16_e32 v103, 10, v11
	v_mul_lo_u16_e32 v11, 6, v103
	v_sub_u16_e32 v118, v86, v11
	v_mov_b32_e32 v11, 5
	v_lshlrev_b32_sdwa v16, v11, v118 dst_sel:DWORD dst_unused:UNUSED_PAD src0_sel:DWORD src1_sel:BYTE_0
	s_waitcnt lgkmcnt(0)
	s_barrier
	global_load_dwordx4 v[12:15], v16, s[12:13] offset:64
	s_nop 0
	global_load_dwordx4 v[16:19], v16, s[12:13] offset:80
	v_lshrrev_b16_e32 v119, 10, v20
	v_mul_lo_u16_e32 v20, 6, v119
	v_sub_u16_e32 v120, v90, v20
	v_lshlrev_b32_sdwa v28, v11, v120 dst_sel:DWORD dst_unused:UNUSED_PAD src0_sel:DWORD src1_sel:BYTE_0
	s_mov_b32 s8, 0xaaab
	global_load_dwordx4 v[20:23], v28, s[12:13] offset:64
	global_load_dwordx4 v[24:27], v28, s[12:13] offset:80
	v_mul_u32_u24_sdwa v28, v96, s8 dst_sel:DWORD dst_unused:UNUSED_PAD src0_sel:WORD_0 src1_sel:DWORD
	v_lshrrev_b32_e32 v121, 18, v28
	v_mul_lo_u16_e32 v28, 6, v121
	v_sub_u16_e32 v122, v96, v28
	v_lshlrev_b32_e32 v36, 5, v122
	global_load_dwordx4 v[28:31], v36, s[12:13] offset:64
	global_load_dwordx4 v[32:35], v36, s[12:13] offset:80
	v_mul_u32_u24_sdwa v36, v95, s8 dst_sel:DWORD dst_unused:UNUSED_PAD src0_sel:WORD_0 src1_sel:DWORD
	v_lshrrev_b32_e32 v123, 18, v36
	v_mul_lo_u16_e32 v36, 6, v123
	v_sub_u16_e32 v124, v95, v36
	v_lshlrev_b32_e32 v44, 5, v124
	global_load_dwordx4 v[36:39], v44, s[12:13] offset:64
	global_load_dwordx4 v[40:43], v44, s[12:13] offset:80
	v_mul_u32_u24_sdwa v44, v94, s8 dst_sel:DWORD dst_unused:UNUSED_PAD src0_sel:WORD_0 src1_sel:DWORD
	v_lshrrev_b32_e32 v125, 18, v44
	v_mul_lo_u16_e32 v44, 6, v125
	v_sub_u16_e32 v126, v94, v44
	v_lshlrev_b32_e32 v52, 5, v126
	global_load_dwordx4 v[44:47], v52, s[12:13] offset:64
	global_load_dwordx4 v[48:51], v52, s[12:13] offset:80
	ds_read_b128 v[52:55], v7
	ds_read_b128 v[56:59], v10
	ds_read_b128 v[60:63], v98 offset:20160
	ds_read_b128 v[64:67], v98 offset:18144
	s_mov_b32 s8, 0xe38f
	s_waitcnt vmcnt(9) lgkmcnt(3)
	v_mul_f64 v[68:69], v[54:55], v[14:15]
	v_mul_f64 v[14:15], v[52:53], v[14:15]
	s_waitcnt vmcnt(8) lgkmcnt(1)
	v_mul_f64 v[110:111], v[62:63], v[18:19]
	v_mul_f64 v[18:19], v[60:61], v[18:19]
	v_fma_f64 v[106:107], v[52:53], v[12:13], -v[68:69]
	v_fma_f64 v[108:109], v[54:55], v[12:13], v[14:15]
	ds_read_b128 v[12:15], v98 offset:12096
	ds_read_b128 v[52:55], v98
	ds_read_b128 v[68:71], v98 offset:22176
	ds_read_b128 v[72:75], v98 offset:14112
	;; [unrolled: 1-line block ×4, first 2 shown]
	v_fma_f64 v[60:61], v[60:61], v[16:17], -v[110:111]
	s_waitcnt vmcnt(7) lgkmcnt(5)
	v_mul_f64 v[112:113], v[14:15], v[22:23]
	v_mul_f64 v[22:23], v[12:13], v[22:23]
	s_waitcnt vmcnt(6) lgkmcnt(3)
	v_mul_f64 v[114:115], v[70:71], v[26:27]
	v_mul_f64 v[26:27], v[68:69], v[26:27]
	;; [unrolled: 3-line block ×3, first 2 shown]
	v_fma_f64 v[62:63], v[62:63], v[16:17], v[18:19]
	ds_read_b128 v[16:19], v98 offset:28224
	v_fma_f64 v[110:111], v[12:13], v[20:21], -v[112:113]
	v_fma_f64 v[112:113], v[14:15], v[20:21], v[22:23]
	ds_read_b128 v[12:15], v98 offset:26208
	v_fma_f64 v[68:69], v[68:69], v[24:25], -v[114:115]
	v_fma_f64 v[70:71], v[70:71], v[24:25], v[26:27]
	v_fma_f64 v[72:73], v[72:73], v[28:29], -v[116:117]
	v_fma_f64 v[74:75], v[74:75], v[28:29], v[30:31]
	s_waitcnt vmcnt(4) lgkmcnt(3)
	v_mul_f64 v[20:21], v[78:79], v[34:35]
	s_waitcnt vmcnt(3) lgkmcnt(2)
	v_mul_f64 v[24:25], v[82:83], v[38:39]
	;; [unrolled: 2-line block ×3, first 2 shown]
	v_mul_f64 v[22:23], v[76:77], v[34:35]
	v_mul_f64 v[26:27], v[80:81], v[38:39]
	;; [unrolled: 1-line block ×3, first 2 shown]
	s_waitcnt vmcnt(1)
	v_mul_f64 v[34:35], v[66:67], v[46:47]
	v_fma_f64 v[38:39], v[76:77], v[32:33], -v[20:21]
	v_fma_f64 v[76:77], v[80:81], v[36:37], -v[24:25]
	v_add_f64 v[20:21], v[106:107], v[60:61]
	v_fma_f64 v[80:81], v[12:13], v[40:41], -v[28:29]
	v_add_f64 v[12:13], v[108:109], v[62:63]
	v_fma_f64 v[42:43], v[78:79], v[32:33], v[22:23]
	v_fma_f64 v[78:79], v[82:83], v[36:37], v[26:27]
	v_fma_f64 v[82:83], v[14:15], v[40:41], v[30:31]
	v_fma_f64 v[114:115], v[64:65], v[44:45], -v[34:35]
	v_mul_f64 v[14:15], v[64:65], v[46:47]
	s_waitcnt vmcnt(0)
	v_mul_f64 v[22:23], v[18:19], v[50:51]
	v_mul_f64 v[24:25], v[16:17], v[50:51]
	v_fma_f64 v[20:21], v[20:21], -0.5, v[52:53]
	v_add_f64 v[26:27], v[54:55], v[108:109]
	v_add_f64 v[28:29], v[52:53], v[106:107]
	v_add_f64 v[30:31], v[108:109], -v[62:63]
	v_fma_f64 v[32:33], v[12:13], -0.5, v[54:55]
	v_add_f64 v[34:35], v[106:107], -v[60:61]
	v_fma_f64 v[46:47], v[66:67], v[44:45], v[14:15]
	v_fma_f64 v[52:53], v[16:17], v[48:49], -v[22:23]
	v_fma_f64 v[48:49], v[18:19], v[48:49], v[24:25]
	v_add_f64 v[14:15], v[26:27], v[62:63]
	v_add_f64 v[12:13], v[28:29], v[60:61]
	v_fma_f64 v[16:17], v[30:31], s[2:3], v[20:21]
	v_add_f64 v[36:37], v[110:111], v[68:69]
	v_fma_f64 v[18:19], v[34:35], s[6:7], v[32:33]
	v_fma_f64 v[20:21], v[30:31], s[6:7], v[20:21]
	;; [unrolled: 1-line block ×3, first 2 shown]
	v_mov_b32_e32 v106, 4
	v_mul_u32_u24_e32 v24, 0x120, v103
	v_lshlrev_b32_sdwa v25, v106, v118 dst_sel:DWORD dst_unused:UNUSED_PAD src0_sel:DWORD src1_sel:BYTE_0
	v_add3_u32 v54, 0, v24, v25
	ds_read_b128 v[24:27], v4
	ds_read_b128 v[28:31], v5
	;; [unrolled: 1-line block ×3, first 2 shown]
	s_waitcnt lgkmcnt(0)
	s_barrier
	v_add_f64 v[40:41], v[112:113], v[70:71]
	ds_write_b128 v54, v[12:15]
	v_add_f64 v[12:13], v[58:59], v[112:113]
	v_add_f64 v[44:45], v[56:57], v[110:111]
	v_fma_f64 v[36:37], v[36:37], -0.5, v[56:57]
	v_add_f64 v[50:51], v[112:113], -v[70:71]
	ds_write_b128 v54, v[16:19] offset:96
	ds_write_b128 v54, v[20:23] offset:192
	v_add_f64 v[18:19], v[72:73], v[38:39]
	v_fma_f64 v[22:23], v[40:41], -0.5, v[58:59]
	v_add_f64 v[40:41], v[110:111], -v[68:69]
	v_add_f64 v[14:15], v[12:13], v[70:71]
	v_add_f64 v[12:13], v[44:45], v[68:69]
	;; [unrolled: 1-line block ×3, first 2 shown]
	v_fma_f64 v[16:17], v[50:51], s[2:3], v[36:37]
	v_fma_f64 v[20:21], v[50:51], s[6:7], v[36:37]
	v_add_f64 v[36:37], v[26:27], v[74:75]
	v_fma_f64 v[50:51], v[18:19], -0.5, v[24:25]
	v_add_f64 v[54:55], v[74:75], -v[42:43]
	v_fma_f64 v[18:19], v[40:41], s[6:7], v[22:23]
	v_fma_f64 v[22:23], v[40:41], s[2:3], v[22:23]
	v_fma_f64 v[44:45], v[44:45], -0.5, v[26:27]
	v_add_f64 v[24:25], v[24:25], v[72:73]
	v_add_f64 v[56:57], v[72:73], -v[38:39]
	v_add_f64 v[26:27], v[36:37], v[42:43]
	v_add_f64 v[42:43], v[76:77], v[80:81]
	v_fma_f64 v[36:37], v[54:55], s[2:3], v[50:51]
	v_fma_f64 v[40:41], v[54:55], s[6:7], v[50:51]
	v_add_f64 v[50:51], v[78:79], v[82:83]
	v_add_f64 v[54:55], v[30:31], v[78:79]
	;; [unrolled: 1-line block ×5, first 2 shown]
	v_fma_f64 v[38:39], v[56:57], s[6:7], v[44:45]
	v_fma_f64 v[60:61], v[42:43], -0.5, v[28:29]
	v_add_f64 v[62:63], v[78:79], -v[82:83]
	v_fma_f64 v[50:51], v[50:51], -0.5, v[30:31]
	v_add_f64 v[30:31], v[54:55], v[82:83]
	v_add_f64 v[54:55], v[46:47], v[48:49]
	v_fma_f64 v[42:43], v[56:57], s[2:3], v[44:45]
	v_add_f64 v[56:57], v[76:77], -v[80:81]
	v_add_f64 v[28:29], v[58:59], v[80:81]
	v_fma_f64 v[58:59], v[64:65], -0.5, v[32:33]
	v_add_f64 v[64:65], v[34:35], v[46:47]
	v_add_f64 v[66:67], v[32:33], v[114:115]
	v_add_f64 v[68:69], v[46:47], -v[48:49]
	v_fma_f64 v[70:71], v[54:55], -0.5, v[34:35]
	v_add_f64 v[72:73], v[114:115], -v[52:53]
	v_fma_f64 v[44:45], v[62:63], s[2:3], v[60:61]
	v_fma_f64 v[46:47], v[56:57], s[6:7], v[50:51]
	;; [unrolled: 1-line block ×4, first 2 shown]
	v_add_f64 v[50:51], v[64:65], v[48:49]
	v_add_f64 v[48:49], v[66:67], v[52:53]
	v_mul_u32_u24_e32 v60, 0x120, v119
	v_lshlrev_b32_sdwa v61, v106, v120 dst_sel:DWORD dst_unused:UNUSED_PAD src0_sel:DWORD src1_sel:BYTE_0
	v_fma_f64 v[52:53], v[68:69], s[2:3], v[58:59]
	v_fma_f64 v[54:55], v[72:73], s[6:7], v[70:71]
	v_add3_u32 v60, 0, v60, v61
	v_fma_f64 v[56:57], v[68:69], s[6:7], v[58:59]
	v_fma_f64 v[58:59], v[72:73], s[2:3], v[70:71]
	ds_write_b128 v60, v[12:15]
	ds_write_b128 v60, v[16:19] offset:96
	ds_write_b128 v60, v[20:23] offset:192
	v_mul_u32_u24_e32 v12, 0x120, v121
	v_lshlrev_b32_e32 v13, 4, v122
	v_add3_u32 v12, 0, v12, v13
	ds_write_b128 v12, v[24:27]
	ds_write_b128 v12, v[36:39] offset:96
	ds_write_b128 v12, v[40:43] offset:192
	v_mul_u32_u24_e32 v12, 0x120, v123
	v_lshlrev_b32_e32 v13, 4, v124
	v_add3_u32 v12, 0, v12, v13
	;; [unrolled: 6-line block ×3, first 2 shown]
	v_mov_b32_e32 v20, 57
	ds_write_b128 v12, v[48:51]
	ds_write_b128 v12, v[52:55] offset:96
	ds_write_b128 v12, v[56:59] offset:192
	v_mul_lo_u16_sdwa v12, v86, v20 dst_sel:DWORD dst_unused:UNUSED_PAD src0_sel:BYTE_0 src1_sel:DWORD
	v_lshrrev_b16_e32 v103, 10, v12
	v_mul_lo_u16_e32 v12, 18, v103
	v_sub_u16_e32 v119, v86, v12
	v_lshlrev_b32_sdwa v16, v11, v119 dst_sel:DWORD dst_unused:UNUSED_PAD src0_sel:DWORD src1_sel:BYTE_0
	s_waitcnt lgkmcnt(0)
	s_barrier
	global_load_dwordx4 v[12:15], v16, s[12:13] offset:256
	s_nop 0
	global_load_dwordx4 v[16:19], v16, s[12:13] offset:272
	v_mul_lo_u16_sdwa v20, v90, v20 dst_sel:DWORD dst_unused:UNUSED_PAD src0_sel:BYTE_0 src1_sel:DWORD
	v_lshrrev_b16_e32 v120, 10, v20
	v_mul_lo_u16_e32 v20, 18, v120
	v_sub_u16_e32 v121, v90, v20
	v_lshlrev_b32_sdwa v11, v11, v121 dst_sel:DWORD dst_unused:UNUSED_PAD src0_sel:DWORD src1_sel:BYTE_0
	global_load_dwordx4 v[20:23], v11, s[12:13] offset:256
	global_load_dwordx4 v[24:27], v11, s[12:13] offset:272
	v_mul_u32_u24_sdwa v11, v96, s8 dst_sel:DWORD dst_unused:UNUSED_PAD src0_sel:WORD_0 src1_sel:DWORD
	v_lshrrev_b32_e32 v122, 20, v11
	v_mul_lo_u16_e32 v11, 18, v122
	v_sub_u16_e32 v123, v96, v11
	v_lshlrev_b32_e32 v11, 5, v123
	global_load_dwordx4 v[28:31], v11, s[12:13] offset:256
	global_load_dwordx4 v[32:35], v11, s[12:13] offset:272
	v_mul_u32_u24_sdwa v11, v95, s8 dst_sel:DWORD dst_unused:UNUSED_PAD src0_sel:WORD_0 src1_sel:DWORD
	v_lshrrev_b32_e32 v124, 20, v11
	v_mul_lo_u16_e32 v11, 18, v124
	v_sub_u16_e32 v125, v95, v11
	v_lshlrev_b32_e32 v11, 5, v125
	;; [unrolled: 7-line block ×3, first 2 shown]
	global_load_dwordx4 v[44:47], v11, s[12:13] offset:256
	global_load_dwordx4 v[48:51], v11, s[12:13] offset:272
	ds_read_b128 v[52:55], v7
	ds_read_b128 v[56:59], v10
	ds_read_b128 v[60:63], v98 offset:20160
	ds_read_b128 v[64:67], v98 offset:18144
	v_mul_u32_u24_e32 v7, 0x360, v103
	v_add_u32_e32 v103, v8, v9
	s_waitcnt vmcnt(9) lgkmcnt(3)
	v_mul_f64 v[68:69], v[54:55], v[14:15]
	v_mul_f64 v[14:15], v[52:53], v[14:15]
	s_waitcnt vmcnt(8) lgkmcnt(1)
	v_mul_f64 v[111:112], v[62:63], v[18:19]
	v_mul_f64 v[18:19], v[60:61], v[18:19]
	v_fma_f64 v[107:108], v[52:53], v[12:13], -v[68:69]
	v_fma_f64 v[109:110], v[54:55], v[12:13], v[14:15]
	ds_read_b128 v[11:14], v98 offset:12096
	ds_read_b128 v[52:55], v98
	ds_read_b128 v[68:71], v98 offset:22176
	ds_read_b128 v[72:75], v98 offset:14112
	;; [unrolled: 1-line block ×4, first 2 shown]
	v_fma_f64 v[60:61], v[60:61], v[16:17], -v[111:112]
	s_waitcnt vmcnt(7) lgkmcnt(5)
	v_mul_f64 v[113:114], v[13:14], v[22:23]
	v_mul_f64 v[22:23], v[11:12], v[22:23]
	s_waitcnt vmcnt(6) lgkmcnt(3)
	v_mul_f64 v[115:116], v[70:71], v[26:27]
	v_mul_f64 v[26:27], v[68:69], v[26:27]
	;; [unrolled: 3-line block ×3, first 2 shown]
	v_fma_f64 v[62:63], v[62:63], v[16:17], v[18:19]
	ds_read_b128 v[15:18], v98 offset:28224
	v_fma_f64 v[111:112], v[11:12], v[20:21], -v[113:114]
	v_fma_f64 v[113:114], v[13:14], v[20:21], v[22:23]
	ds_read_b128 v[11:14], v98 offset:26208
	v_fma_f64 v[70:71], v[70:71], v[24:25], v[26:27]
	v_fma_f64 v[72:73], v[72:73], v[28:29], -v[117:118]
	v_fma_f64 v[74:75], v[74:75], v[28:29], v[30:31]
	s_waitcnt vmcnt(4) lgkmcnt(3)
	v_mul_f64 v[19:20], v[78:79], v[34:35]
	v_mul_f64 v[21:22], v[76:77], v[34:35]
	s_waitcnt vmcnt(2) lgkmcnt(0)
	v_mul_f64 v[27:28], v[13:14], v[42:43]
	v_fma_f64 v[68:69], v[68:69], v[24:25], -v[115:116]
	v_mul_f64 v[23:24], v[82:83], v[38:39]
	v_mul_f64 v[25:26], v[80:81], v[38:39]
	;; [unrolled: 1-line block ×3, first 2 shown]
	s_waitcnt vmcnt(1)
	v_mul_f64 v[34:35], v[66:67], v[46:47]
	v_fma_f64 v[38:39], v[76:77], v[32:33], -v[19:20]
	v_fma_f64 v[31:32], v[78:79], v[32:33], v[21:22]
	v_add_f64 v[19:20], v[107:108], v[60:61]
	v_fma_f64 v[78:79], v[11:12], v[40:41], -v[27:28]
	v_add_f64 v[11:12], v[109:110], v[62:63]
	v_fma_f64 v[42:43], v[80:81], v[36:37], -v[23:24]
	v_fma_f64 v[76:77], v[82:83], v[36:37], v[25:26]
	v_fma_f64 v[40:41], v[13:14], v[40:41], v[29:30]
	v_fma_f64 v[80:81], v[64:65], v[44:45], -v[34:35]
	v_mul_f64 v[13:14], v[64:65], v[46:47]
	s_waitcnt vmcnt(0)
	v_mul_f64 v[21:22], v[17:18], v[50:51]
	v_mul_f64 v[23:24], v[15:16], v[50:51]
	v_fma_f64 v[19:20], v[19:20], -0.5, v[52:53]
	v_add_f64 v[25:26], v[54:55], v[109:110]
	v_add_f64 v[27:28], v[52:53], v[107:108]
	v_add_f64 v[29:30], v[109:110], -v[62:63]
	v_fma_f64 v[33:34], v[11:12], -0.5, v[54:55]
	v_add_f64 v[35:36], v[107:108], -v[60:61]
	v_fma_f64 v[44:45], v[66:67], v[44:45], v[13:14]
	v_fma_f64 v[51:52], v[15:16], v[48:49], -v[21:22]
	v_fma_f64 v[47:48], v[17:18], v[48:49], v[23:24]
	v_add_f64 v[13:14], v[25:26], v[62:63]
	v_add_f64 v[11:12], v[27:28], v[60:61]
	v_fma_f64 v[15:16], v[29:30], s[2:3], v[19:20]
	v_fma_f64 v[19:20], v[29:30], s[6:7], v[19:20]
	;; [unrolled: 1-line block ×4, first 2 shown]
	v_add_f64 v[33:34], v[111:112], v[68:69]
	v_lshlrev_b32_sdwa v23, v106, v119 dst_sel:DWORD dst_unused:UNUSED_PAD src0_sel:DWORD src1_sel:BYTE_0
	v_add3_u32 v37, 0, v7, v23
	ds_read_b128 v[23:26], v4
	ds_read_b128 v[27:30], v5
	;; [unrolled: 1-line block ×3, first 2 shown]
	s_waitcnt lgkmcnt(0)
	s_barrier
	v_add_f64 v[35:36], v[113:114], v[70:71]
	ds_write_b128 v37, v[11:14]
	v_add_f64 v[11:12], v[58:59], v[113:114]
	v_add_f64 v[49:50], v[56:57], v[111:112]
	v_fma_f64 v[33:34], v[33:34], -0.5, v[56:57]
	v_add_f64 v[53:54], v[113:114], -v[70:71]
	ds_write_b128 v37, v[15:18] offset:288
	ds_write_b128 v37, v[19:22] offset:576
	v_add_f64 v[17:18], v[72:73], v[38:39]
	v_fma_f64 v[21:22], v[35:36], -0.5, v[58:59]
	v_add_f64 v[35:36], v[111:112], -v[68:69]
	v_add_f64 v[13:14], v[11:12], v[70:71]
	v_add_f64 v[11:12], v[49:50], v[68:69]
	;; [unrolled: 1-line block ×3, first 2 shown]
	v_fma_f64 v[15:16], v[53:54], s[2:3], v[33:34]
	v_fma_f64 v[19:20], v[53:54], s[6:7], v[33:34]
	v_add_f64 v[33:34], v[25:26], v[74:75]
	v_fma_f64 v[53:54], v[17:18], -0.5, v[23:24]
	v_add_f64 v[55:56], v[74:75], -v[31:32]
	v_add_f64 v[23:24], v[23:24], v[72:73]
	v_fma_f64 v[17:18], v[35:36], s[6:7], v[21:22]
	v_fma_f64 v[21:22], v[35:36], s[2:3], v[21:22]
	v_fma_f64 v[49:50], v[49:50], -0.5, v[25:26]
	v_add_f64 v[57:58], v[72:73], -v[38:39]
	v_add_f64 v[25:26], v[33:34], v[31:32]
	v_add_f64 v[59:60], v[42:43], v[78:79]
	v_fma_f64 v[31:32], v[55:56], s[2:3], v[53:54]
	v_fma_f64 v[35:36], v[55:56], s[6:7], v[53:54]
	v_add_f64 v[53:54], v[76:77], v[40:41]
	v_add_f64 v[55:56], v[29:30], v[76:77]
	;; [unrolled: 1-line block ×5, first 2 shown]
	v_fma_f64 v[33:34], v[57:58], s[6:7], v[49:50]
	v_fma_f64 v[37:38], v[57:58], s[2:3], v[49:50]
	v_fma_f64 v[59:60], v[59:60], -0.5, v[27:28]
	v_fma_f64 v[49:50], v[53:54], -0.5, v[29:30]
	v_add_f64 v[53:54], v[44:45], v[47:48]
	v_add_f64 v[63:64], v[76:77], -v[40:41]
	v_add_f64 v[29:30], v[55:56], v[40:41]
	v_add_f64 v[55:56], v[42:43], -v[78:79]
	v_add_f64 v[27:28], v[61:62], v[78:79]
	v_fma_f64 v[57:58], v[65:66], -0.5, v[4:5]
	v_add_f64 v[61:62], v[6:7], v[44:45]
	v_add_f64 v[4:5], v[4:5], v[80:81]
	v_add_f64 v[65:66], v[44:45], -v[47:48]
	v_fma_f64 v[6:7], v[53:54], -0.5, v[6:7]
	v_add_f64 v[67:68], v[80:81], -v[51:52]
	v_fma_f64 v[39:40], v[63:64], s[2:3], v[59:60]
	v_fma_f64 v[41:42], v[55:56], s[6:7], v[49:50]
	;; [unrolled: 1-line block ×4, first 2 shown]
	v_add_f64 v[49:50], v[61:62], v[47:48]
	v_add_f64 v[47:48], v[4:5], v[51:52]
	v_mul_u32_u24_e32 v55, 0x360, v120
	v_lshlrev_b32_sdwa v56, v106, v121 dst_sel:DWORD dst_unused:UNUSED_PAD src0_sel:DWORD src1_sel:BYTE_0
	v_fma_f64 v[51:52], v[65:66], s[2:3], v[57:58]
	v_fma_f64 v[53:54], v[67:68], s[6:7], v[6:7]
	v_add3_u32 v55, 0, v55, v56
	v_fma_f64 v[4:5], v[65:66], s[6:7], v[57:58]
	v_fma_f64 v[6:7], v[67:68], s[2:3], v[6:7]
	ds_write_b128 v55, v[11:14]
	ds_write_b128 v55, v[15:18] offset:288
	ds_write_b128 v55, v[19:22] offset:576
	v_mul_u32_u24_e32 v11, 0x360, v122
	v_lshlrev_b32_e32 v12, 4, v123
	v_add3_u32 v11, 0, v11, v12
	ds_write_b128 v11, v[23:26]
	ds_write_b128 v11, v[31:34] offset:288
	ds_write_b128 v11, v[35:38] offset:576
	v_mul_u32_u24_e32 v11, 0x360, v124
	v_lshlrev_b32_e32 v12, 4, v125
	v_add3_u32 v11, 0, v11, v12
	;; [unrolled: 6-line block ×3, first 2 shown]
	ds_write_b128 v11, v[47:50]
	ds_write_b128 v11, v[51:54] offset:288
	ds_write_b128 v11, v[4:7] offset:576
	s_waitcnt lgkmcnt(0)
	s_barrier
	ds_read_b128 v[36:39], v98
	ds_read_b128 v[64:67], v98 offset:4320
	ds_read_b128 v[60:63], v98 offset:8640
	ds_read_b128 v[40:43], v98 offset:6336
	ds_read_b128 v[72:75], v98 offset:12960
	ds_read_b128 v[44:47], v98 offset:10656
	ds_read_b128 v[76:79], v98 offset:17280
	ds_read_b128 v[48:51], v98 offset:14976
	ds_read_b128 v[80:83], v98 offset:21600
	ds_read_b128 v[52:55], v98 offset:19296
	ds_read_b128 v[68:71], v98 offset:25920
	ds_read_b128 v[56:59], v98 offset:23616
	ds_read_b128 v[28:31], v10
	ds_read_b128 v[32:35], v98 offset:27936
	v_cmp_gt_u32_e64 s[2:3], 18, v86
                                        ; implicit-def: $vgpr26_vgpr27
                                        ; implicit-def: $vgpr22_vgpr23
                                        ; implicit-def: $vgpr18_vgpr19
                                        ; implicit-def: $vgpr14_vgpr15
                                        ; implicit-def: $vgpr10_vgpr11
	s_and_saveexec_b64 s[6:7], s[2:3]
	s_cbranch_execz .LBB0_17
; %bb.16:
	ds_read_b128 v[4:7], v103
	ds_read_b128 v[0:3], v98 offset:8352
	ds_read_b128 v[8:11], v98 offset:12672
	;; [unrolled: 1-line block ×6, first 2 shown]
.LBB0_17:
	s_or_b64 exec, exec, s[6:7]
	v_mov_b32_e32 v109, 19
	v_mul_lo_u16_sdwa v107, v86, v109 dst_sel:DWORD dst_unused:UNUSED_PAD src0_sel:BYTE_0 src1_sel:DWORD
	v_lshrrev_b16_e32 v107, 10, v107
	v_mul_lo_u16_e32 v108, 54, v107
	v_sub_u16_e32 v108, v86, v108
	v_mov_b32_e32 v135, 6
	v_mul_u32_u24_sdwa v110, v108, v135 dst_sel:DWORD dst_unused:UNUSED_PAD src0_sel:BYTE_0 src1_sel:DWORD
	v_lshlrev_b32_e32 v110, 4, v110
	global_load_dwordx4 v[111:114], v110, s[12:13] offset:832
	global_load_dwordx4 v[115:118], v110, s[12:13] offset:848
	;; [unrolled: 1-line block ×6, first 2 shown]
	v_mul_lo_u16_sdwa v109, v90, v109 dst_sel:DWORD dst_unused:UNUSED_PAD src0_sel:BYTE_0 src1_sel:DWORD
	v_lshrrev_b16_e32 v109, 10, v109
	v_mul_lo_u16_e32 v110, 54, v109
	v_sub_u16_e32 v110, v90, v110
	v_mul_u32_u24_sdwa v135, v110, v135 dst_sel:DWORD dst_unused:UNUSED_PAD src0_sel:BYTE_0 src1_sel:DWORD
	v_lshlrev_b32_e32 v155, 4, v135
	global_load_dwordx4 v[135:138], v155, s[12:13] offset:832
	global_load_dwordx4 v[139:142], v155, s[12:13] offset:848
	;; [unrolled: 1-line block ×5, first 2 shown]
	s_nop 0
	global_load_dwordx4 v[155:158], v155, s[12:13] offset:912
	s_mov_b32 s18, 0x37e14327
	s_mov_b32 s14, 0x36b3c0b5
	s_mov_b32 s16, 0xe976ee23
	s_mov_b32 s8, 0x429ad128
	s_mov_b32 s19, 0x3fe948f6
	s_mov_b32 s15, 0x3fac98ee
	s_mov_b32 s17, 0xbfe11646
	s_mov_b32 s9, 0x3febfeb5
	s_mov_b32 s6, 0xaaaaaaaa
	s_mov_b32 s20, 0x5476071b
	s_mov_b32 s26, 0xb247c609
	s_mov_b32 s7, 0xbff2aaaa
	s_mov_b32 s21, 0x3fe77f67
	s_mov_b32 s23, 0xbfe77f67
	s_mov_b32 s22, s20
	s_mov_b32 s27, 0x3fd5d0dc
	s_mov_b32 s29, 0xbfd5d0dc
	s_mov_b32 s28, s26
	s_mov_b32 s24, 0x37c3f68c
	s_mov_b32 s25, 0x3fdc38aa
	v_mul_u32_u24_e32 v107, 0x17a0, v107
	v_lshlrev_b32_sdwa v108, v106, v108 dst_sel:DWORD dst_unused:UNUSED_PAD src0_sel:DWORD src1_sel:BYTE_0
	v_add3_u32 v107, 0, v107, v108
	s_waitcnt vmcnt(0) lgkmcnt(0)
	s_barrier
	v_sub_u32_e32 v104, 0, v104
	v_sub_u32_e32 v105, 0, v105
	v_mul_f64 v[159:160], v[66:67], v[113:114]
	v_mul_f64 v[113:114], v[64:65], v[113:114]
	;; [unrolled: 1-line block ×16, first 2 shown]
	v_fma_f64 v[64:65], v[64:65], v[111:112], -v[159:160]
	v_fma_f64 v[66:67], v[66:67], v[111:112], v[113:114]
	v_fma_f64 v[60:61], v[60:61], v[115:116], -v[161:162]
	v_fma_f64 v[62:63], v[62:63], v[115:116], v[117:118]
	;; [unrolled: 2-line block ×4, first 2 shown]
	v_mul_f64 v[173:174], v[46:47], v[141:142]
	v_mul_f64 v[141:142], v[44:45], v[141:142]
	v_mul_f64 v[177:178], v[54:55], v[149:150]
	v_mul_f64 v[149:150], v[52:53], v[149:150]
	v_fma_f64 v[72:73], v[72:73], v[119:120], -v[163:164]
	v_fma_f64 v[74:75], v[74:75], v[119:120], v[121:122]
	v_fma_f64 v[76:77], v[76:77], v[123:124], -v[165:166]
	v_fma_f64 v[78:79], v[78:79], v[123:124], v[125:126]
	v_fma_f64 v[111:112], v[40:41], v[135:136], -v[171:172]
	v_fma_f64 v[113:114], v[42:43], v[135:136], v[137:138]
	v_fma_f64 v[119:120], v[48:49], v[143:144], -v[175:176]
	v_fma_f64 v[121:122], v[50:51], v[143:144], v[145:146]
	v_add_f64 v[40:41], v[64:65], v[68:69]
	v_add_f64 v[42:43], v[66:67], v[70:71]
	;; [unrolled: 1-line block ×4, first 2 shown]
	v_fma_f64 v[115:116], v[44:45], v[139:140], -v[173:174]
	v_fma_f64 v[117:118], v[46:47], v[139:140], v[141:142]
	v_fma_f64 v[123:124], v[52:53], v[147:148], -v[177:178]
	v_fma_f64 v[125:126], v[54:55], v[147:148], v[149:150]
	v_add_f64 v[44:45], v[64:65], -v[68:69]
	v_add_f64 v[46:47], v[66:67], -v[70:71]
	;; [unrolled: 1-line block ×4, first 2 shown]
	v_add_f64 v[60:61], v[72:73], v[76:77]
	v_add_f64 v[62:63], v[74:75], v[78:79]
	v_add_f64 v[64:65], v[76:77], -v[72:73]
	v_add_f64 v[66:67], v[78:79], -v[74:75]
	v_add_f64 v[68:69], v[48:49], v[40:41]
	v_add_f64 v[70:71], v[50:51], v[42:43]
	v_add_f64 v[72:73], v[48:49], -v[40:41]
	v_add_f64 v[74:75], v[50:51], -v[42:43]
	;; [unrolled: 1-line block ×6, first 2 shown]
	v_add_f64 v[76:77], v[64:65], v[52:53]
	v_add_f64 v[78:79], v[66:67], v[54:55]
	v_add_f64 v[80:81], v[64:65], -v[52:53]
	v_add_f64 v[82:83], v[66:67], -v[54:55]
	;; [unrolled: 1-line block ×4, first 2 shown]
	v_add_f64 v[60:61], v[60:61], v[68:69]
	v_add_f64 v[62:63], v[62:63], v[70:71]
	v_add_f64 v[64:65], v[44:45], -v[64:65]
	v_add_f64 v[66:67], v[46:47], -v[66:67]
	v_add_f64 v[44:45], v[76:77], v[44:45]
	v_add_f64 v[46:47], v[78:79], v[46:47]
	v_mul_f64 v[40:41], v[40:41], s[18:19]
	v_mul_f64 v[42:43], v[42:43], s[18:19]
	;; [unrolled: 1-line block ×6, first 2 shown]
	v_add_f64 v[36:37], v[36:37], v[60:61]
	v_add_f64 v[38:39], v[38:39], v[62:63]
	v_mul_f64 v[80:81], v[52:53], s[8:9]
	v_mul_f64 v[82:83], v[54:55], s[8:9]
	;; [unrolled: 1-line block ×6, first 2 shown]
	v_fma_f64 v[48:49], v[48:49], s[14:15], v[40:41]
	v_fma_f64 v[50:51], v[50:51], s[14:15], v[42:43]
	v_fma_f64 v[68:69], v[72:73], s[20:21], -v[68:69]
	v_fma_f64 v[70:71], v[74:75], s[20:21], -v[70:71]
	v_fma_f64 v[60:61], v[60:61], s[6:7], v[36:37]
	v_fma_f64 v[62:63], v[62:63], s[6:7], v[38:39]
	v_fma_f64 v[40:41], v[72:73], s[22:23], -v[40:41]
	v_fma_f64 v[42:43], v[74:75], s[22:23], -v[42:43]
	;; [unrolled: 4-line block ×3, first 2 shown]
	v_fma_f64 v[64:65], v[64:65], s[28:29], -v[80:81]
	v_fma_f64 v[66:67], v[66:67], s[28:29], -v[82:83]
	;; [unrolled: 1-line block ×3, first 2 shown]
	v_fma_f64 v[58:59], v[58:59], v[151:152], v[153:154]
	v_add_f64 v[76:77], v[48:49], v[60:61]
	v_add_f64 v[78:79], v[50:51], v[62:63]
	;; [unrolled: 1-line block ×6, first 2 shown]
	v_fma_f64 v[68:69], v[46:47], s[24:25], v[74:75]
	v_fma_f64 v[70:71], v[44:45], s[24:25], v[72:73]
	;; [unrolled: 1-line block ×6, first 2 shown]
	v_fma_f64 v[72:73], v[32:33], v[155:156], -v[181:182]
	v_fma_f64 v[74:75], v[34:35], v[155:156], v[157:158]
	v_add_f64 v[80:81], v[119:120], v[123:124]
	v_add_f64 v[82:83], v[121:122], v[125:126]
	;; [unrolled: 1-line block ×3, first 2 shown]
	v_add_f64 v[42:43], v[62:63], -v[64:65]
	v_add_f64 v[44:45], v[48:49], -v[54:55]
	v_add_f64 v[46:47], v[52:53], v[50:51]
	v_add_f64 v[48:49], v[54:55], v[48:49]
	v_add_f64 v[50:51], v[50:51], -v[52:53]
	v_add_f64 v[52:53], v[60:61], -v[66:67]
	v_add_f64 v[54:55], v[64:65], v[62:63]
	v_add_f64 v[60:61], v[111:112], v[72:73]
	v_add_f64 v[62:63], v[113:114], v[74:75]
	v_add_f64 v[64:65], v[111:112], -v[72:73]
	v_add_f64 v[66:67], v[113:114], -v[74:75]
	v_add_f64 v[72:73], v[115:116], v[56:57]
	v_add_f64 v[74:75], v[117:118], v[58:59]
	v_add_f64 v[56:57], v[115:116], -v[56:57]
	v_add_f64 v[58:59], v[117:118], -v[58:59]
	;; [unrolled: 1-line block ×4, first 2 shown]
	v_add_f64 v[32:33], v[68:69], v[76:77]
	v_add_f64 v[34:35], v[78:79], -v[70:71]
	v_add_f64 v[115:116], v[72:73], v[60:61]
	v_add_f64 v[117:118], v[74:75], v[62:63]
	v_add_f64 v[119:120], v[72:73], -v[60:61]
	v_add_f64 v[121:122], v[74:75], -v[62:63]
	v_add_f64 v[60:61], v[60:61], -v[80:81]
	v_add_f64 v[62:63], v[62:63], -v[82:83]
	v_add_f64 v[72:73], v[80:81], -v[72:73]
	v_add_f64 v[74:75], v[82:83], -v[74:75]
	v_add_f64 v[123:124], v[111:112], v[56:57]
	v_add_f64 v[125:126], v[113:114], v[58:59]
	v_add_f64 v[127:128], v[111:112], -v[56:57]
	v_add_f64 v[129:130], v[113:114], -v[58:59]
	v_add_f64 v[80:81], v[80:81], v[115:116]
	v_add_f64 v[82:83], v[82:83], v[117:118]
	v_add_f64 v[56:57], v[56:57], -v[64:65]
	v_add_f64 v[58:59], v[58:59], -v[66:67]
	;; [unrolled: 1-line block ×4, first 2 shown]
	v_add_f64 v[64:65], v[123:124], v[64:65]
	v_add_f64 v[66:67], v[125:126], v[66:67]
	v_add_f64 v[28:29], v[28:29], v[80:81]
	v_add_f64 v[30:31], v[30:31], v[82:83]
	v_mul_f64 v[60:61], v[60:61], s[18:19]
	v_mul_f64 v[62:63], v[62:63], s[18:19]
	;; [unrolled: 1-line block ×8, first 2 shown]
	v_fma_f64 v[80:81], v[80:81], s[6:7], v[28:29]
	v_fma_f64 v[82:83], v[82:83], s[6:7], v[30:31]
	v_fma_f64 v[72:73], v[72:73], s[14:15], v[60:61]
	v_fma_f64 v[74:75], v[74:75], s[14:15], v[62:63]
	v_fma_f64 v[115:116], v[119:120], s[20:21], -v[115:116]
	v_fma_f64 v[117:118], v[121:122], s[20:21], -v[117:118]
	;; [unrolled: 1-line block ×4, first 2 shown]
	v_fma_f64 v[119:120], v[111:112], s[26:27], v[123:124]
	v_fma_f64 v[121:122], v[113:114], s[26:27], v[125:126]
	v_fma_f64 v[111:112], v[111:112], s[28:29], -v[127:128]
	v_fma_f64 v[113:114], v[113:114], s[28:29], -v[129:130]
	;; [unrolled: 1-line block ×4, first 2 shown]
	v_add_f64 v[123:124], v[72:73], v[80:81]
	v_add_f64 v[125:126], v[74:75], v[82:83]
	;; [unrolled: 1-line block ×4, first 2 shown]
	v_fma_f64 v[115:116], v[66:67], s[24:25], v[121:122]
	v_fma_f64 v[117:118], v[64:65], s[24:25], v[119:120]
	v_add_f64 v[80:81], v[60:61], v[80:81]
	v_add_f64 v[82:83], v[62:63], v[82:83]
	v_fma_f64 v[113:114], v[66:67], s[24:25], v[113:114]
	v_fma_f64 v[111:112], v[64:65], s[24:25], v[111:112]
	;; [unrolled: 1-line block ×4, first 2 shown]
	v_add_f64 v[60:61], v[115:116], v[123:124]
	v_add_f64 v[62:63], v[125:126], -v[117:118]
	v_add_f64 v[56:57], v[76:77], -v[68:69]
	v_add_f64 v[58:59], v[70:71], v[78:79]
	v_add_f64 v[64:65], v[113:114], v[80:81]
	v_add_f64 v[66:67], v[82:83], -v[111:112]
	v_add_f64 v[68:69], v[72:73], -v[119:120]
	v_add_f64 v[70:71], v[121:122], v[74:75]
	;; [unrolled: 4-line block ×3, first 2 shown]
	v_add_f64 v[80:81], v[123:124], -v[115:116]
	v_add_f64 v[82:83], v[117:118], v[125:126]
	ds_write_b128 v107, v[36:39]
	ds_write_b128 v107, v[32:35] offset:864
	ds_write_b128 v107, v[40:43] offset:1728
	;; [unrolled: 1-line block ×6, first 2 shown]
	v_mul_u32_u24_e32 v32, 0x17a0, v109
	v_lshlrev_b32_sdwa v33, v106, v110 dst_sel:DWORD dst_unused:UNUSED_PAD src0_sel:DWORD src1_sel:BYTE_0
	v_add3_u32 v32, 0, v32, v33
	ds_write_b128 v32, v[28:31]
	ds_write_b128 v32, v[60:63] offset:864
	ds_write_b128 v32, v[64:67] offset:1728
	;; [unrolled: 1-line block ×6, first 2 shown]
	s_and_saveexec_b64 s[30:31], s[2:3]
	s_cbranch_execz .LBB0_19
; %bb.18:
	v_lshrrev_b16_e32 v28, 1, v96
	v_mul_u32_u24_e32 v28, 0x97b5, v28
	v_lshrrev_b32_e32 v28, 20, v28
	v_mul_lo_u16_e32 v28, 54, v28
	v_sub_u16_e32 v64, v96, v28
	v_mul_u32_u24_e32 v28, 6, v64
	v_lshlrev_b32_e32 v52, 4, v28
	global_load_dwordx4 v[28:31], v52, s[12:13] offset:880
	global_load_dwordx4 v[32:35], v52, s[12:13] offset:864
	;; [unrolled: 1-line block ×6, first 2 shown]
	s_waitcnt vmcnt(5)
	v_mul_f64 v[52:53], v[18:19], v[30:31]
	s_waitcnt vmcnt(4)
	v_mul_f64 v[54:55], v[14:15], v[34:35]
	;; [unrolled: 2-line block ×6, first 2 shown]
	v_mul_f64 v[38:39], v[8:9], v[38:39]
	v_mul_f64 v[42:43], v[20:21], v[42:43]
	;; [unrolled: 1-line block ×6, first 2 shown]
	v_fma_f64 v[8:9], v[8:9], v[36:37], -v[56:57]
	v_fma_f64 v[20:21], v[20:21], v[40:41], -v[58:59]
	v_fma_f64 v[0:1], v[0:1], v[44:45], -v[60:61]
	v_fma_f64 v[24:25], v[24:25], v[48:49], -v[62:63]
	v_fma_f64 v[10:11], v[10:11], v[36:37], v[38:39]
	v_fma_f64 v[22:23], v[22:23], v[40:41], v[42:43]
	;; [unrolled: 1-line block ×4, first 2 shown]
	v_fma_f64 v[16:17], v[16:17], v[28:29], -v[52:53]
	v_fma_f64 v[12:13], v[12:13], v[32:33], -v[54:55]
	v_fma_f64 v[14:15], v[14:15], v[32:33], v[34:35]
	v_fma_f64 v[18:19], v[18:19], v[28:29], v[30:31]
	v_add_f64 v[30:31], v[8:9], -v[20:21]
	v_add_f64 v[32:33], v[0:1], -v[24:25]
	v_add_f64 v[36:37], v[10:11], v[22:23]
	v_add_f64 v[38:39], v[2:3], v[26:27]
	;; [unrolled: 1-line block ×4, first 2 shown]
	v_add_f64 v[28:29], v[16:17], -v[12:13]
	v_add_f64 v[34:35], v[14:15], v[18:19]
	v_add_f64 v[12:13], v[12:13], v[16:17]
	v_add_f64 v[14:15], v[18:19], -v[14:15]
	v_add_f64 v[10:11], v[10:11], -v[22:23]
	;; [unrolled: 1-line block ×3, first 2 shown]
	v_add_f64 v[26:27], v[36:37], v[38:39]
	v_add_f64 v[42:43], v[8:9], v[0:1]
	;; [unrolled: 1-line block ×3, first 2 shown]
	v_add_f64 v[18:19], v[28:29], -v[30:31]
	v_add_f64 v[20:21], v[32:33], -v[28:29]
	;; [unrolled: 1-line block ×5, first 2 shown]
	v_add_f64 v[44:45], v[14:15], v[10:11]
	v_add_f64 v[46:47], v[14:15], -v[10:11]
	v_add_f64 v[26:27], v[34:35], v[26:27]
	v_add_f64 v[12:13], v[12:13], v[42:43]
	v_add_f64 v[22:23], v[34:35], -v[36:37]
	v_add_f64 v[30:31], v[30:31], -v[32:33]
	;; [unrolled: 1-line block ×6, first 2 shown]
	v_mul_f64 v[18:19], v[18:19], s[16:17]
	v_mul_f64 v[24:25], v[24:25], s[18:19]
	;; [unrolled: 1-line block ×3, first 2 shown]
	v_add_f64 v[40:41], v[44:45], v[2:3]
	v_mul_f64 v[42:43], v[46:47], s[16:17]
	v_add_f64 v[2:3], v[6:7], v[26:27]
	v_add_f64 v[0:1], v[4:5], v[12:13]
	;; [unrolled: 1-line block ×3, first 2 shown]
	v_mul_f64 v[32:33], v[22:23], s[14:15]
	v_mul_f64 v[44:45], v[30:31], s[8:9]
	v_mul_f64 v[46:47], v[10:11], s[8:9]
	v_mul_f64 v[34:35], v[28:29], s[14:15]
	v_fma_f64 v[48:49], v[20:21], s[26:27], v[18:19]
	v_fma_f64 v[22:23], v[22:23], s[14:15], v[24:25]
	;; [unrolled: 1-line block ×6, first 2 shown]
	v_fma_f64 v[20:21], v[20:21], s[28:29], -v[44:45]
	v_fma_f64 v[24:25], v[36:37], s[22:23], -v[24:25]
	;; [unrolled: 1-line block ×8, first 2 shown]
	v_fma_f64 v[30:31], v[16:17], s[24:25], v[48:49]
	v_fma_f64 v[4:5], v[40:41], s[24:25], v[4:5]
	v_add_f64 v[34:35], v[22:23], v[26:27]
	v_add_f64 v[38:39], v[6:7], v[12:13]
	v_fma_f64 v[20:21], v[16:17], s[24:25], v[20:21]
	v_fma_f64 v[16:17], v[16:17], s[24:25], v[18:19]
	v_add_f64 v[22:23], v[24:25], v[26:27]
	v_add_f64 v[18:19], v[32:33], v[26:27]
	v_fma_f64 v[32:33], v[40:41], s[24:25], v[14:15]
	v_add_f64 v[28:29], v[28:29], v[12:13]
	v_fma_f64 v[36:37], v[40:41], s[24:25], v[10:11]
	v_add_f64 v[8:9], v[8:9], v[12:13]
	v_add_f64 v[26:27], v[34:35], -v[30:31]
	v_add_f64 v[24:25], v[4:5], v[38:39]
	v_add_f64 v[10:11], v[20:21], v[22:23]
	v_add_f64 v[22:23], v[22:23], -v[20:21]
	v_add_f64 v[14:15], v[18:19], -v[16:17]
	v_add_f64 v[20:21], v[32:33], v[28:29]
	v_add_f64 v[18:19], v[16:17], v[18:19]
	v_add_f64 v[16:17], v[8:9], -v[36:37]
	v_add_f64 v[12:13], v[36:37], v[8:9]
	v_add_f64 v[8:9], v[28:29], -v[32:33]
	;; [unrolled: 2-line block ×3, first 2 shown]
	v_lshl_add_u32 v28, v64, 4, 0
	ds_write_b128 v28, v[0:3] offset:24192
	ds_write_b128 v28, v[24:27] offset:25056
	;; [unrolled: 1-line block ×7, first 2 shown]
.LBB0_19:
	s_or_b64 exec, exec, s[30:31]
	v_lshlrev_b32_e32 v0, 2, v86
	v_mov_b32_e32 v1, 0
	v_lshlrev_b64 v[2:3], 4, v[0:1]
	v_mov_b32_e32 v12, s13
	v_add_co_u32_e64 v0, s[2:3], s12, v2
	v_addc_co_u32_e64 v2, s[2:3], v12, v3, s[2:3]
	s_movk_i32 s6, 0x1780
	v_add_co_u32_e64 v10, s[2:3], s6, v0
	v_addc_co_u32_e64 v11, s[2:3], 0, v2, s[2:3]
	s_movk_i32 s7, 0x1000
	v_add_co_u32_e64 v21, s[2:3], s7, v0
	v_addc_co_u32_e64 v22, s[2:3], 0, v2, s[2:3]
	v_lshlrev_b32_e32 v0, 2, v90
	s_waitcnt lgkmcnt(0)
	s_barrier
	global_load_dwordx4 v[2:5], v[21:22], off offset:1920
	global_load_dwordx4 v[6:9], v[10:11], off offset:48
	;; [unrolled: 1-line block ×4, first 2 shown]
	v_lshlrev_b64 v[10:11], 4, v[0:1]
	s_mov_b32 s9, 0xbfee6f0e
	v_add_co_u32_e64 v0, s[2:3], s12, v10
	v_addc_co_u32_e64 v25, s[2:3], v12, v11, s[2:3]
	v_add_co_u32_e64 v10, s[2:3], s7, v0
	v_addc_co_u32_e64 v11, s[2:3], 0, v25, s[2:3]
	global_load_dwordx4 v[21:24], v[10:11], off offset:1920
	v_add_co_u32_e64 v10, s[2:3], s6, v0
	v_addc_co_u32_e64 v11, s[2:3], 0, v25, s[2:3]
	global_load_dwordx4 v[25:28], v[10:11], off offset:48
	global_load_dwordx4 v[29:32], v[10:11], off offset:32
	;; [unrolled: 1-line block ×3, first 2 shown]
	v_lshlrev_b32_e32 v0, 2, v96
	v_lshlrev_b64 v[10:11], 4, v[0:1]
	s_mov_b32 s15, 0xbfe2cf23
	v_add_co_u32_e64 v0, s[2:3], s12, v10
	v_addc_co_u32_e64 v12, s[2:3], v12, v11, s[2:3]
	v_add_co_u32_e64 v10, s[2:3], s7, v0
	v_addc_co_u32_e64 v11, s[2:3], 0, v12, s[2:3]
	global_load_dwordx4 v[37:40], v[10:11], off offset:1920
	v_add_co_u32_e64 v10, s[2:3], s6, v0
	v_addc_co_u32_e64 v11, s[2:3], 0, v12, s[2:3]
	global_load_dwordx4 v[41:44], v[10:11], off offset:16
	global_load_dwordx4 v[45:48], v[10:11], off offset:32
	;; [unrolled: 1-line block ×3, first 2 shown]
	v_add_u32_e32 v11, v102, v105
	v_lshl_add_u32 v10, v92, 4, 0
	v_add_u32_e32 v12, v101, v104
	ds_read_b128 v[53:56], v98
	ds_read_b128 v[57:60], v98 offset:8064
	ds_read_b128 v[61:64], v98 offset:24192
	ds_read_b128 v[65:68], v98 offset:26208
	ds_read_b128 v[69:72], v103
	ds_read_b128 v[73:76], v98 offset:14112
	ds_read_b128 v[77:80], v98 offset:10080
	;; [unrolled: 1-line block ×4, first 2 shown]
	ds_read_b128 v[112:115], v11
	ds_read_b128 v[116:119], v98 offset:20160
	ds_read_b128 v[120:123], v98 offset:22176
	ds_read_b128 v[124:127], v10
	ds_read_b128 v[128:131], v12
	ds_read_b128 v[132:135], v98 offset:28224
	s_mov_b32 s2, 0x134454ff
	s_mov_b32 s3, 0x3fee6f0e
	;; [unrolled: 1-line block ×8, first 2 shown]
	s_waitcnt vmcnt(0) lgkmcnt(0)
	s_barrier
	v_mul_f64 v[81:82], v[114:115], v[4:5]
	v_mul_f64 v[4:5], v[112:113], v[4:5]
	;; [unrolled: 1-line block ×8, first 2 shown]
	v_fma_f64 v[81:82], v[112:113], v[2:3], -v[81:82]
	v_fma_f64 v[112:113], v[114:115], v[2:3], v[4:5]
	v_fma_f64 v[4:5], v[124:125], v[17:18], -v[101:102]
	v_fma_f64 v[19:20], v[126:127], v[17:18], v[19:20]
	v_fma_f64 v[17:18], v[104:105], v[13:14], -v[136:137]
	v_mul_f64 v[140:141], v[59:60], v[23:24]
	v_fma_f64 v[15:16], v[106:107], v[13:14], v[15:16]
	v_fma_f64 v[13:14], v[61:62], v[6:7], -v[138:139]
	v_fma_f64 v[8:9], v[63:64], v[6:7], v[8:9]
	v_mul_f64 v[2:3], v[57:58], v[23:24]
	v_mul_f64 v[6:7], v[75:76], v[35:36]
	v_mul_f64 v[23:24], v[73:74], v[35:36]
	v_mul_f64 v[35:36], v[118:119], v[31:32]
	v_mul_f64 v[31:32], v[116:117], v[31:32]
	v_mul_f64 v[61:62], v[67:68], v[27:28]
	v_mul_f64 v[27:28], v[65:66], v[27:28]
	v_fma_f64 v[57:58], v[57:58], v[21:22], -v[140:141]
	v_fma_f64 v[59:60], v[59:60], v[21:22], v[2:3]
	v_fma_f64 v[63:64], v[73:74], v[33:34], -v[6:7]
	v_fma_f64 v[73:74], v[75:76], v[33:34], v[23:24]
	v_add_f64 v[23:24], v[53:54], v[81:82]
	v_fma_f64 v[35:36], v[116:117], v[29:30], -v[35:36]
	v_mul_f64 v[2:3], v[79:80], v[39:40]
	v_mul_f64 v[6:7], v[77:78], v[39:40]
	v_fma_f64 v[31:32], v[118:119], v[29:30], v[31:32]
	v_fma_f64 v[29:30], v[65:66], v[25:26], -v[61:62]
	v_fma_f64 v[61:62], v[67:68], v[25:26], v[27:28]
	v_mul_f64 v[21:22], v[110:111], v[43:44]
	v_add_f64 v[27:28], v[4:5], v[17:18]
	v_mul_f64 v[33:34], v[120:121], v[47:48]
	v_fma_f64 v[65:66], v[77:78], v[37:38], -v[2:3]
	v_mul_f64 v[2:3], v[122:123], v[47:48]
	v_fma_f64 v[47:48], v[79:80], v[37:38], v[6:7]
	v_add_f64 v[6:7], v[23:24], v[4:5]
	v_mul_f64 v[25:26], v[108:109], v[43:44]
	v_fma_f64 v[67:68], v[108:109], v[41:42], -v[21:22]
	v_fma_f64 v[21:22], v[27:28], -0.5, v[53:54]
	v_add_f64 v[23:24], v[112:113], -v[8:9]
	v_add_f64 v[37:38], v[81:82], v[13:14]
	v_fma_f64 v[77:78], v[120:121], v[45:46], -v[2:3]
	v_mul_f64 v[2:3], v[134:135], v[51:52]
	v_add_f64 v[6:7], v[6:7], v[17:18]
	v_fma_f64 v[75:76], v[110:111], v[41:42], v[25:26]
	v_fma_f64 v[79:80], v[122:123], v[45:46], v[33:34]
	v_mul_f64 v[25:26], v[132:133], v[51:52]
	v_fma_f64 v[27:28], v[23:24], s[2:3], v[21:22]
	v_add_f64 v[33:34], v[19:20], -v[15:16]
	v_add_f64 v[39:40], v[81:82], -v[4:5]
	;; [unrolled: 1-line block ×3, first 2 shown]
	v_fma_f64 v[51:52], v[132:133], v[49:50], -v[2:3]
	v_add_f64 v[2:3], v[6:7], v[13:14]
	v_fma_f64 v[6:7], v[37:38], -0.5, v[53:54]
	v_add_f64 v[37:38], v[55:56], v[112:113]
	v_fma_f64 v[101:102], v[134:135], v[49:50], v[25:26]
	v_fma_f64 v[25:26], v[33:34], s[6:7], v[27:28]
	;; [unrolled: 1-line block ×3, first 2 shown]
	v_add_f64 v[27:28], v[39:40], v[41:42]
	v_add_f64 v[39:40], v[19:20], v[15:16]
	v_add_f64 v[43:44], v[4:5], -v[81:82]
	v_fma_f64 v[41:42], v[33:34], s[8:9], v[6:7]
	v_add_f64 v[45:46], v[17:18], -v[13:14]
	v_fma_f64 v[6:7], v[33:34], s[2:3], v[6:7]
	v_add_f64 v[37:38], v[37:38], v[19:20]
	v_add_f64 v[49:50], v[81:82], -v[13:14]
	v_fma_f64 v[13:14], v[33:34], s[14:15], v[21:22]
	v_fma_f64 v[39:40], v[39:40], -0.5, v[55:56]
	v_add_f64 v[53:54], v[73:74], -v[31:32]
	v_fma_f64 v[21:22], v[23:24], s[6:7], v[41:42]
	v_add_f64 v[33:34], v[43:44], v[45:46]
	v_fma_f64 v[23:24], v[23:24], s[14:15], v[6:7]
	v_add_f64 v[37:38], v[37:38], v[15:16]
	v_add_f64 v[43:44], v[112:113], v[8:9]
	v_add_f64 v[45:46], v[4:5], -v[17:18]
	v_fma_f64 v[41:42], v[49:50], s[8:9], v[39:40]
	v_fma_f64 v[6:7], v[27:28], s[16:17], v[25:26]
	;; [unrolled: 1-line block ×5, first 2 shown]
	v_add_f64 v[4:5], v[37:38], v[8:9]
	v_fma_f64 v[23:24], v[43:44], -0.5, v[55:56]
	v_add_f64 v[27:28], v[112:113], -v[19:20]
	v_add_f64 v[33:34], v[8:9], -v[15:16]
	v_add_f64 v[37:38], v[128:129], v[57:58]
	v_fma_f64 v[25:26], v[45:46], s[14:15], v[41:42]
	v_fma_f64 v[39:40], v[49:50], s[2:3], v[39:40]
	v_add_f64 v[41:42], v[63:64], v[35:36]
	v_add_f64 v[19:20], v[19:20], -v[112:113]
	v_fma_f64 v[43:44], v[45:46], s[2:3], v[23:24]
	v_add_f64 v[8:9], v[15:16], -v[8:9]
	v_fma_f64 v[15:16], v[45:46], s[8:9], v[23:24]
	v_add_f64 v[23:24], v[27:28], v[33:34]
	v_add_f64 v[27:28], v[37:38], v[63:64]
	v_fma_f64 v[33:34], v[45:46], s[6:7], v[39:40]
	v_fma_f64 v[37:38], v[41:42], -0.5, v[128:129]
	v_add_f64 v[39:40], v[59:60], -v[61:62]
	v_fma_f64 v[41:42], v[49:50], s[14:15], v[43:44]
	v_add_f64 v[43:44], v[19:20], v[8:9]
	v_fma_f64 v[45:46], v[49:50], s[6:7], v[15:16]
	v_add_f64 v[49:50], v[57:58], v[29:30]
	v_add_f64 v[27:28], v[27:28], v[35:36]
	v_fma_f64 v[8:9], v[23:24], s[16:17], v[25:26]
	v_fma_f64 v[15:16], v[23:24], s[16:17], v[33:34]
	;; [unrolled: 1-line block ×6, first 2 shown]
	v_fma_f64 v[41:42], v[49:50], -0.5, v[128:129]
	v_add_f64 v[25:26], v[27:28], v[29:30]
	v_add_f64 v[27:28], v[57:58], -v[63:64]
	v_add_f64 v[43:44], v[29:30], -v[35:36]
	v_add_f64 v[45:46], v[130:131], v[59:60]
	v_fma_f64 v[33:34], v[53:54], s[6:7], v[33:34]
	v_add_f64 v[49:50], v[73:74], v[31:32]
	v_fma_f64 v[37:38], v[53:54], s[14:15], v[37:38]
	v_fma_f64 v[55:56], v[53:54], s[8:9], v[41:42]
	;; [unrolled: 1-line block ×3, first 2 shown]
	v_add_f64 v[81:82], v[63:64], -v[57:58]
	v_add_f64 v[27:28], v[27:28], v[43:44]
	v_add_f64 v[43:44], v[45:46], v[73:74]
	v_add_f64 v[104:105], v[35:36], -v[29:30]
	v_fma_f64 v[45:46], v[49:50], -0.5, v[130:131]
	v_add_f64 v[49:50], v[57:58], -v[29:30]
	v_fma_f64 v[53:54], v[39:40], s[6:7], v[55:56]
	v_add_f64 v[35:36], v[63:64], -v[35:36]
	v_add_f64 v[63:64], v[59:60], -v[73:74]
	v_fma_f64 v[29:30], v[27:28], s[16:17], v[33:34]
	v_fma_f64 v[33:34], v[27:28], s[16:17], v[37:38]
	;; [unrolled: 1-line block ×3, first 2 shown]
	v_add_f64 v[39:40], v[43:44], v[31:32]
	v_add_f64 v[43:44], v[59:60], v[61:62]
	;; [unrolled: 1-line block ×3, first 2 shown]
	v_add_f64 v[81:82], v[61:62], -v[31:32]
	v_fma_f64 v[57:58], v[49:50], s[8:9], v[45:46]
	v_add_f64 v[59:60], v[73:74], -v[59:60]
	v_add_f64 v[31:32], v[31:32], -v[61:62]
	v_fma_f64 v[45:46], v[49:50], s[2:3], v[45:46]
	v_add_f64 v[73:74], v[75:76], -v[79:80]
	v_fma_f64 v[43:44], v[43:44], -0.5, v[130:131]
	v_fma_f64 v[37:38], v[55:56], s[16:17], v[53:54]
	v_add_f64 v[53:54], v[67:68], v[77:78]
	v_fma_f64 v[41:42], v[55:56], s[16:17], v[27:28]
	v_add_f64 v[55:56], v[69:70], v[65:66]
	v_add_f64 v[63:64], v[63:64], v[81:82]
	;; [unrolled: 1-line block ×3, first 2 shown]
	v_fma_f64 v[39:40], v[35:36], s[14:15], v[57:58]
	v_fma_f64 v[81:82], v[35:36], s[2:3], v[43:44]
	v_fma_f64 v[43:44], v[35:36], s[8:9], v[43:44]
	v_fma_f64 v[53:54], v[53:54], -0.5, v[69:70]
	v_add_f64 v[57:58], v[47:48], -v[101:102]
	v_add_f64 v[55:56], v[55:56], v[67:68]
	v_add_f64 v[59:60], v[59:60], v[31:32]
	v_add_f64 v[104:105], v[65:66], -v[67:68]
	v_add_f64 v[106:107], v[51:52], -v[77:78]
	v_fma_f64 v[81:82], v[49:50], s[14:15], v[81:82]
	v_fma_f64 v[43:44], v[49:50], s[6:7], v[43:44]
	;; [unrolled: 1-line block ×4, first 2 shown]
	v_add_f64 v[45:46], v[65:66], v[51:52]
	v_add_f64 v[49:50], v[55:56], v[77:78]
	v_fma_f64 v[31:32], v[63:64], s[16:17], v[39:40]
	v_fma_f64 v[53:54], v[57:58], s[8:9], v[53:54]
	;; [unrolled: 1-line block ×4, first 2 shown]
	v_add_f64 v[59:60], v[75:76], v[79:80]
	v_add_f64 v[81:82], v[47:48], v[101:102]
	v_fma_f64 v[55:56], v[73:74], s[6:7], v[61:62]
	v_add_f64 v[61:62], v[104:105], v[106:107]
	v_fma_f64 v[69:70], v[45:46], -0.5, v[69:70]
	v_fma_f64 v[35:36], v[63:64], s[16:17], v[35:36]
	v_add_f64 v[45:46], v[49:50], v[51:52]
	v_add_f64 v[63:64], v[67:68], -v[65:66]
	v_add_f64 v[104:105], v[77:78], -v[51:52]
	v_add_f64 v[106:107], v[71:72], v[47:48]
	v_fma_f64 v[59:60], v[59:60], -0.5, v[71:72]
	v_add_f64 v[51:52], v[65:66], -v[51:52]
	v_add_f64 v[65:66], v[67:68], -v[77:78]
	v_fma_f64 v[67:68], v[81:82], -0.5, v[71:72]
	v_fma_f64 v[49:50], v[61:62], s[16:17], v[55:56]
	v_fma_f64 v[55:56], v[73:74], s[8:9], v[69:70]
	;; [unrolled: 1-line block ×3, first 2 shown]
	v_add_f64 v[63:64], v[63:64], v[104:105]
	v_fma_f64 v[69:70], v[73:74], s[2:3], v[69:70]
	v_add_f64 v[71:72], v[106:107], v[75:76]
	v_fma_f64 v[73:74], v[51:52], s[8:9], v[59:60]
	v_add_f64 v[77:78], v[47:48], -v[75:76]
	v_add_f64 v[81:82], v[101:102], -v[79:80]
	v_fma_f64 v[59:60], v[51:52], s[2:3], v[59:60]
	v_fma_f64 v[104:105], v[65:66], s[2:3], v[67:68]
	v_add_f64 v[47:48], v[75:76], -v[47:48]
	v_add_f64 v[75:76], v[79:80], -v[101:102]
	v_fma_f64 v[67:68], v[65:66], s[8:9], v[67:68]
	v_fma_f64 v[55:56], v[57:58], s[6:7], v[55:56]
	;; [unrolled: 1-line block ×3, first 2 shown]
	v_add_f64 v[71:72], v[71:72], v[79:80]
	v_fma_f64 v[73:74], v[65:66], s[14:15], v[73:74]
	v_add_f64 v[77:78], v[77:78], v[81:82]
	v_fma_f64 v[59:60], v[65:66], s[6:7], v[59:60]
	v_fma_f64 v[65:66], v[51:52], s[14:15], v[104:105]
	v_add_f64 v[75:76], v[47:48], v[75:76]
	v_fma_f64 v[67:68], v[51:52], s[6:7], v[67:68]
	v_fma_f64 v[53:54], v[61:62], s[16:17], v[53:54]
	;; [unrolled: 1-line block ×4, first 2 shown]
	v_add_f64 v[47:48], v[71:72], v[101:102]
	v_fma_f64 v[51:52], v[77:78], s[16:17], v[73:74]
	v_fma_f64 v[55:56], v[77:78], s[16:17], v[59:60]
	;; [unrolled: 1-line block ×4, first 2 shown]
	ds_write_b128 v98, v[2:5]
	ds_write_b128 v98, v[6:9] offset:6048
	ds_write_b128 v98, v[17:20] offset:12096
	ds_write_b128 v98, v[21:24] offset:18144
	ds_write_b128 v98, v[13:16] offset:24192
	ds_write_b128 v12, v[25:28]
	ds_write_b128 v12, v[29:32] offset:6048
	ds_write_b128 v12, v[37:40] offset:12096
	ds_write_b128 v12, v[41:44] offset:18144
	ds_write_b128 v12, v[33:36] offset:24192
	ds_write_b128 v103, v[45:48]
	ds_write_b128 v103, v[49:52] offset:6048
	ds_write_b128 v103, v[57:60] offset:12096
	ds_write_b128 v103, v[61:64] offset:18144
	ds_write_b128 v103, v[53:56] offset:24192
	s_waitcnt lgkmcnt(0)
	s_barrier
	ds_read_b128 v[4:7], v98
	s_add_u32 s8, s12, 0x7600
	s_addc_u32 s9, s13, 0
	v_sub_u32_e32 v13, 0, v87
	v_cmp_ne_u32_e64 s[2:3], 0, v86
                                        ; implicit-def: $vgpr2_vgpr3
                                        ; implicit-def: $vgpr8_vgpr9
	s_and_saveexec_b64 s[6:7], s[2:3]
	s_xor_b64 s[6:7], exec, s[6:7]
	s_cbranch_execz .LBB0_21
; %bb.20:
	v_mov_b32_e32 v87, v1
	v_lshlrev_b64 v[0:1], 4, v[86:87]
	v_mov_b32_e32 v2, s9
	v_add_co_u32_e64 v0, s[2:3], s8, v0
	v_addc_co_u32_e64 v1, s[2:3], v2, v1, s[2:3]
	global_load_dwordx4 v[14:17], v[0:1], off
	ds_read_b128 v[0:3], v13 offset:30240
	s_waitcnt lgkmcnt(0)
	v_add_f64 v[8:9], v[4:5], -v[0:1]
	v_add_f64 v[18:19], v[6:7], v[2:3]
	v_add_f64 v[2:3], v[6:7], -v[2:3]
	v_add_f64 v[0:1], v[4:5], v[0:1]
	v_mul_f64 v[6:7], v[8:9], 0.5
	v_mul_f64 v[4:5], v[18:19], 0.5
	v_mul_f64 v[2:3], v[2:3], 0.5
	s_waitcnt vmcnt(0)
	v_mul_f64 v[8:9], v[6:7], v[16:17]
	v_fma_f64 v[18:19], v[4:5], v[16:17], v[2:3]
	v_fma_f64 v[2:3], v[4:5], v[16:17], -v[2:3]
	v_fma_f64 v[20:21], v[0:1], 0.5, v[8:9]
	v_fma_f64 v[0:1], v[0:1], 0.5, -v[8:9]
	v_fma_f64 v[8:9], -v[14:15], v[6:7], v[18:19]
	v_fma_f64 v[2:3], -v[14:15], v[6:7], v[2:3]
	v_fma_f64 v[16:17], v[4:5], v[14:15], v[20:21]
	v_fma_f64 v[0:1], -v[4:5], v[14:15], v[0:1]
                                        ; implicit-def: $vgpr4_vgpr5
	ds_write_b64 v98, v[16:17]
.LBB0_21:
	s_or_saveexec_b64 s[2:3], s[6:7]
	v_sub_u32_e32 v14, 0, v91
	v_sub_u32_e32 v15, 0, v97
	s_xor_b64 exec, exec, s[2:3]
	s_cbranch_execz .LBB0_23
; %bb.22:
	s_waitcnt lgkmcnt(0)
	v_add_f64 v[2:3], v[4:5], v[6:7]
	v_mov_b32_e32 v18, 0
	ds_read_b64 v[16:17], v18 offset:15128
	v_add_f64 v[0:1], v[4:5], -v[6:7]
	v_mov_b32_e32 v8, 0
	v_mov_b32_e32 v9, 0
	s_waitcnt lgkmcnt(0)
	v_xor_b32_e32 v17, 0x80000000, v17
	ds_write_b64 v18, v[16:17] offset:15128
	ds_write_b64 v98, v[2:3]
	v_mov_b32_e32 v2, v8
	v_mov_b32_e32 v3, v9
.LBB0_23:
	s_or_b64 exec, exec, s[2:3]
	v_mov_b32_e32 v91, 0
	s_waitcnt lgkmcnt(0)
	v_lshlrev_b64 v[4:5], 4, v[90:91]
	v_mov_b32_e32 v6, s9
	v_add_co_u32_e64 v4, s[2:3], s8, v4
	v_addc_co_u32_e64 v5, s[2:3], v6, v5, s[2:3]
	global_load_dwordx4 v[4:7], v[4:5], off
	v_mov_b32_e32 v97, v91
	v_lshlrev_b64 v[16:17], 4, v[96:97]
	v_mov_b32_e32 v18, s9
	v_add_co_u32_e64 v16, s[2:3], s8, v16
	v_addc_co_u32_e64 v17, s[2:3], v18, v17, s[2:3]
	global_load_dwordx4 v[16:19], v[16:17], off
	ds_write_b64 v98, v[8:9] offset:8
	ds_write_b128 v13, v[0:3] offset:30240
	ds_read_b128 v[0:3], v12
	ds_read_b128 v[20:23], v13 offset:28224
	v_mov_b32_e32 v96, v91
	v_mov_b32_e32 v32, s9
	v_add_u32_e32 v15, v100, v15
	s_waitcnt lgkmcnt(0)
	v_add_f64 v[8:9], v[0:1], -v[20:21]
	v_add_f64 v[24:25], v[2:3], v[22:23]
	v_add_f64 v[2:3], v[2:3], -v[22:23]
	v_add_f64 v[0:1], v[0:1], v[20:21]
	v_lshlrev_b64 v[20:21], 4, v[95:96]
	v_mov_b32_e32 v95, v91
	v_mul_f64 v[22:23], v[8:9], 0.5
	v_mul_f64 v[24:25], v[24:25], 0.5
	;; [unrolled: 1-line block ×3, first 2 shown]
	s_waitcnt vmcnt(1)
	v_mul_f64 v[8:9], v[22:23], v[6:7]
	v_fma_f64 v[26:27], v[24:25], v[6:7], v[2:3]
	v_fma_f64 v[6:7], v[24:25], v[6:7], -v[2:3]
	v_fma_f64 v[28:29], v[0:1], 0.5, v[8:9]
	v_fma_f64 v[30:31], v[0:1], 0.5, -v[8:9]
	v_add_co_u32_e64 v0, s[2:3], s8, v20
	v_addc_co_u32_e64 v1, s[2:3], v32, v21, s[2:3]
	global_load_dwordx4 v[0:3], v[0:1], off
	v_fma_f64 v[8:9], -v[4:5], v[22:23], v[26:27]
	v_fma_f64 v[22:23], -v[4:5], v[22:23], v[6:7]
	v_fma_f64 v[6:7], v[24:25], v[4:5], v[28:29]
	v_fma_f64 v[20:21], -v[24:25], v[4:5], v[30:31]
	ds_write_b128 v12, v[6:9]
	ds_write_b128 v13, v[20:23] offset:28224
	ds_read_b128 v[4:7], v103
	ds_read_b128 v[20:23], v13 offset:26208
	v_mov_b32_e32 v12, s9
	s_waitcnt lgkmcnt(0)
	v_add_f64 v[8:9], v[4:5], -v[20:21]
	v_add_f64 v[24:25], v[6:7], v[22:23]
	v_add_f64 v[6:7], v[6:7], -v[22:23]
	v_add_f64 v[4:5], v[4:5], v[20:21]
	v_mul_f64 v[8:9], v[8:9], 0.5
	v_mul_f64 v[22:23], v[24:25], 0.5
	;; [unrolled: 1-line block ×3, first 2 shown]
	v_lshlrev_b64 v[24:25], 4, v[94:95]
	v_mov_b32_e32 v94, v91
	s_waitcnt vmcnt(1)
	v_mul_f64 v[20:21], v[8:9], v[18:19]
	v_fma_f64 v[26:27], v[22:23], v[18:19], v[6:7]
	v_fma_f64 v[18:19], v[22:23], v[18:19], -v[6:7]
	v_fma_f64 v[28:29], v[4:5], 0.5, v[20:21]
	v_fma_f64 v[30:31], v[4:5], 0.5, -v[20:21]
	v_add_co_u32_e64 v4, s[2:3], s8, v24
	v_addc_co_u32_e64 v5, s[2:3], v12, v25, s[2:3]
	global_load_dwordx4 v[4:7], v[4:5], off
	v_fma_f64 v[20:21], -v[16:17], v[8:9], v[26:27]
	v_fma_f64 v[24:25], -v[16:17], v[8:9], v[18:19]
	v_fma_f64 v[18:19], v[22:23], v[16:17], v[28:29]
	v_fma_f64 v[22:23], -v[22:23], v[16:17], v[30:31]
	ds_write_b128 v103, v[18:21]
	ds_write_b128 v13, v[22:25] offset:26208
	ds_read_b128 v[16:19], v11
	ds_read_b128 v[20:23], v13 offset:24192
	s_waitcnt lgkmcnt(0)
	v_add_f64 v[8:9], v[16:17], -v[20:21]
	v_add_f64 v[24:25], v[18:19], v[22:23]
	v_add_f64 v[18:19], v[18:19], -v[22:23]
	v_add_f64 v[16:17], v[16:17], v[20:21]
	v_lshlrev_b64 v[22:23], 4, v[93:94]
	v_mov_b32_e32 v93, v91
	v_mul_f64 v[8:9], v[8:9], 0.5
	v_mul_f64 v[24:25], v[24:25], 0.5
	;; [unrolled: 1-line block ×3, first 2 shown]
	s_waitcnt vmcnt(1)
	v_mul_f64 v[20:21], v[8:9], v[2:3]
	v_fma_f64 v[26:27], v[24:25], v[2:3], v[18:19]
	v_fma_f64 v[2:3], v[24:25], v[2:3], -v[18:19]
	v_fma_f64 v[28:29], v[16:17], 0.5, v[20:21]
	v_fma_f64 v[30:31], v[16:17], 0.5, -v[20:21]
	v_add_co_u32_e64 v16, s[2:3], s8, v22
	v_addc_co_u32_e64 v17, s[2:3], v12, v23, s[2:3]
	global_load_dwordx4 v[16:19], v[16:17], off
	v_fma_f64 v[22:23], -v[0:1], v[8:9], v[26:27]
	v_fma_f64 v[20:21], v[24:25], v[0:1], v[28:29]
	v_fma_f64 v[2:3], -v[0:1], v[8:9], v[2:3]
	v_fma_f64 v[0:1], -v[24:25], v[0:1], v[30:31]
	v_mov_b32_e32 v30, s9
	ds_write_b128 v11, v[20:23]
	ds_write_b128 v13, v[0:3] offset:24192
	ds_read_b128 v[0:3], v15
	ds_read_b128 v[20:23], v13 offset:22176
	s_waitcnt lgkmcnt(0)
	v_add_f64 v[8:9], v[0:1], -v[20:21]
	v_add_f64 v[11:12], v[2:3], v[22:23]
	v_add_f64 v[2:3], v[2:3], -v[22:23]
	v_add_f64 v[0:1], v[0:1], v[20:21]
	v_lshlrev_b64 v[20:21], 4, v[92:93]
	v_mul_f64 v[22:23], v[8:9], 0.5
	v_mul_f64 v[11:12], v[11:12], 0.5
	;; [unrolled: 1-line block ×3, first 2 shown]
	s_waitcnt vmcnt(1)
	v_mul_f64 v[8:9], v[22:23], v[6:7]
	v_fma_f64 v[24:25], v[11:12], v[6:7], v[2:3]
	v_fma_f64 v[6:7], v[11:12], v[6:7], -v[2:3]
	v_fma_f64 v[26:27], v[0:1], 0.5, v[8:9]
	v_fma_f64 v[28:29], v[0:1], 0.5, -v[8:9]
	v_add_co_u32_e64 v0, s[2:3], s8, v20
	v_addc_co_u32_e64 v1, s[2:3], v30, v21, s[2:3]
	global_load_dwordx4 v[0:3], v[0:1], off
	v_fma_f64 v[8:9], -v[4:5], v[22:23], v[24:25]
	v_fma_f64 v[22:23], -v[4:5], v[22:23], v[6:7]
	v_fma_f64 v[6:7], v[11:12], v[4:5], v[26:27]
	v_fma_f64 v[20:21], -v[11:12], v[4:5], v[28:29]
	v_add_u32_e32 v24, v99, v14
	ds_write_b128 v15, v[6:9]
	ds_write_b128 v13, v[20:23] offset:22176
	ds_read_b128 v[4:7], v24
	ds_read_b128 v[20:23], v13 offset:20160
	s_waitcnt lgkmcnt(0)
	v_add_f64 v[8:9], v[4:5], -v[20:21]
	v_add_f64 v[11:12], v[6:7], v[22:23]
	v_add_f64 v[6:7], v[6:7], -v[22:23]
	v_add_f64 v[4:5], v[4:5], v[20:21]
	v_mul_f64 v[8:9], v[8:9], 0.5
	v_mul_f64 v[11:12], v[11:12], 0.5
	v_mul_f64 v[6:7], v[6:7], 0.5
	s_waitcnt vmcnt(1)
	v_mul_f64 v[14:15], v[8:9], v[18:19]
	v_fma_f64 v[20:21], v[11:12], v[18:19], v[6:7]
	v_fma_f64 v[18:19], v[11:12], v[18:19], -v[6:7]
	v_fma_f64 v[22:23], v[4:5], 0.5, v[14:15]
	v_fma_f64 v[14:15], v[4:5], 0.5, -v[14:15]
	v_fma_f64 v[6:7], -v[16:17], v[8:9], v[20:21]
	v_fma_f64 v[18:19], -v[16:17], v[8:9], v[18:19]
	v_fma_f64 v[4:5], v[11:12], v[16:17], v[22:23]
	v_fma_f64 v[16:17], -v[11:12], v[16:17], v[14:15]
	ds_write_b128 v24, v[4:7]
	ds_write_b128 v13, v[16:19] offset:20160
	ds_read_b128 v[4:7], v10
	ds_read_b128 v[14:17], v13 offset:18144
	s_waitcnt lgkmcnt(0)
	v_add_f64 v[8:9], v[4:5], -v[14:15]
	v_add_f64 v[11:12], v[6:7], v[16:17]
	v_add_f64 v[6:7], v[6:7], -v[16:17]
	v_add_f64 v[4:5], v[4:5], v[14:15]
	v_mul_f64 v[8:9], v[8:9], 0.5
	v_mul_f64 v[11:12], v[11:12], 0.5
	v_mul_f64 v[6:7], v[6:7], 0.5
	s_waitcnt vmcnt(0)
	v_mul_f64 v[14:15], v[8:9], v[2:3]
	v_fma_f64 v[16:17], v[11:12], v[2:3], v[6:7]
	v_fma_f64 v[2:3], v[11:12], v[2:3], -v[6:7]
	v_fma_f64 v[6:7], v[4:5], 0.5, v[14:15]
	v_fma_f64 v[14:15], v[4:5], 0.5, -v[14:15]
	v_fma_f64 v[4:5], -v[0:1], v[8:9], v[16:17]
	v_fma_f64 v[8:9], -v[0:1], v[8:9], v[2:3]
	v_fma_f64 v[2:3], v[11:12], v[0:1], v[6:7]
	v_fma_f64 v[6:7], -v[11:12], v[0:1], v[14:15]
	ds_write_b128 v10, v[2:5]
	ds_write_b128 v13, v[6:9] offset:18144
	s_and_saveexec_b64 s[2:3], vcc
	s_cbranch_execz .LBB0_25
; %bb.24:
	v_add_u32_e32 v90, 0x372, v86
	v_lshlrev_b64 v[0:1], 4, v[90:91]
	v_mov_b32_e32 v2, s9
	v_add_co_u32_e32 v0, vcc, s8, v0
	v_addc_co_u32_e32 v1, vcc, v2, v1, vcc
	global_load_dwordx4 v[0:3], v[0:1], off
	ds_read_b128 v[4:7], v98 offset:14112
	ds_read_b128 v[8:11], v13 offset:16128
	s_waitcnt lgkmcnt(0)
	v_add_f64 v[14:15], v[4:5], -v[8:9]
	v_add_f64 v[16:17], v[6:7], v[10:11]
	v_add_f64 v[6:7], v[6:7], -v[10:11]
	v_add_f64 v[4:5], v[4:5], v[8:9]
	v_mul_f64 v[10:11], v[14:15], 0.5
	v_mul_f64 v[14:15], v[16:17], 0.5
	;; [unrolled: 1-line block ×3, first 2 shown]
	s_waitcnt vmcnt(0)
	v_mul_f64 v[8:9], v[10:11], v[2:3]
	v_fma_f64 v[16:17], v[14:15], v[2:3], v[6:7]
	v_fma_f64 v[2:3], v[14:15], v[2:3], -v[6:7]
	v_fma_f64 v[6:7], v[4:5], 0.5, v[8:9]
	v_fma_f64 v[18:19], v[4:5], 0.5, -v[8:9]
	v_fma_f64 v[4:5], -v[0:1], v[10:11], v[16:17]
	v_fma_f64 v[8:9], -v[0:1], v[10:11], v[2:3]
	v_fma_f64 v[2:3], v[14:15], v[0:1], v[6:7]
	v_fma_f64 v[6:7], -v[14:15], v[0:1], v[18:19]
	ds_write_b128 v98, v[2:5] offset:14112
	ds_write_b128 v13, v[6:9] offset:16128
.LBB0_25:
	s_or_b64 exec, exec, s[2:3]
	s_waitcnt lgkmcnt(0)
	s_barrier
	s_and_saveexec_b64 s[2:3], s[0:1]
	s_cbranch_execz .LBB0_28
; %bb.26:
	v_mul_lo_u32 v2, s5, v88
	v_mul_lo_u32 v3, s4, v89
	v_mad_u64_u32 v[0:1], s[0:1], s4, v88, 0
	v_mov_b32_e32 v6, s11
	v_lshl_add_u32 v12, v86, 4, 0
	v_add3_u32 v1, v1, v3, v2
	v_lshlrev_b64 v[0:1], 4, v[0:1]
	v_mov_b32_e32 v87, 0
	v_add_co_u32_e32 v0, vcc, s10, v0
	v_addc_co_u32_e32 v8, vcc, v6, v1, vcc
	v_lshlrev_b64 v[6:7], 4, v[84:85]
	ds_read_b128 v[2:5], v12
	v_add_co_u32_e32 v1, vcc, v0, v6
	v_addc_co_u32_e32 v0, vcc, v8, v7, vcc
	v_lshlrev_b64 v[6:7], 4, v[86:87]
	s_movk_i32 s0, 0x7d
	v_add_co_u32_e32 v10, vcc, v1, v6
	v_addc_co_u32_e32 v11, vcc, v0, v7, vcc
	ds_read_b128 v[6:9], v12 offset:2016
	s_waitcnt lgkmcnt(1)
	global_store_dwordx4 v[10:11], v[2:5], off
	s_nop 0
	v_add_u32_e32 v2, 0x7e, v86
	v_mov_b32_e32 v3, v87
	v_lshlrev_b64 v[2:3], 4, v[2:3]
	v_add_co_u32_e32 v2, vcc, v1, v2
	v_addc_co_u32_e32 v3, vcc, v0, v3, vcc
	s_waitcnt lgkmcnt(0)
	global_store_dwordx4 v[2:3], v[6:9], off
	ds_read_b128 v[2:5], v12 offset:4032
	v_add_u32_e32 v6, 0xfc, v86
	v_mov_b32_e32 v7, v87
	v_lshlrev_b64 v[6:7], 4, v[6:7]
	v_add_co_u32_e32 v10, vcc, v1, v6
	v_addc_co_u32_e32 v11, vcc, v0, v7, vcc
	ds_read_b128 v[6:9], v12 offset:6048
	s_waitcnt lgkmcnt(1)
	global_store_dwordx4 v[10:11], v[2:5], off
	s_nop 0
	v_add_u32_e32 v2, 0x17a, v86
	v_mov_b32_e32 v3, v87
	v_lshlrev_b64 v[2:3], 4, v[2:3]
	v_add_co_u32_e32 v2, vcc, v1, v2
	v_addc_co_u32_e32 v3, vcc, v0, v3, vcc
	s_waitcnt lgkmcnt(0)
	global_store_dwordx4 v[2:3], v[6:9], off
	ds_read_b128 v[2:5], v12 offset:8064
	v_add_u32_e32 v6, 0x1f8, v86
	v_mov_b32_e32 v7, v87
	v_lshlrev_b64 v[6:7], 4, v[6:7]
	;; [unrolled: 17-line block ×7, first 2 shown]
	v_add_co_u32_e32 v6, vcc, v1, v6
	v_addc_co_u32_e32 v7, vcc, v0, v7, vcc
	v_cmp_eq_u32_e32 vcc, s0, v86
	s_waitcnt lgkmcnt(0)
	global_store_dwordx4 v[6:7], v[2:5], off
	s_and_b64 exec, exec, vcc
	s_cbranch_execz .LBB0_28
; %bb.27:
	ds_read_b128 v[2:5], v87 offset:30240
	v_add_co_u32_e32 v6, vcc, 0x7000, v1
	v_addc_co_u32_e32 v7, vcc, 0, v0, vcc
	s_waitcnt lgkmcnt(0)
	global_store_dwordx4 v[6:7], v[2:5], off offset:1568
.LBB0_28:
	s_endpgm
	.section	.rodata,"a",@progbits
	.p2align	6, 0x0
	.amdhsa_kernel fft_rtc_fwd_len1890_factors_2_3_3_3_7_5_wgs_126_tpt_126_halfLds_dp_op_CI_CI_unitstride_sbrr_R2C_dirReg
		.amdhsa_group_segment_fixed_size 0
		.amdhsa_private_segment_fixed_size 0
		.amdhsa_kernarg_size 104
		.amdhsa_user_sgpr_count 6
		.amdhsa_user_sgpr_private_segment_buffer 1
		.amdhsa_user_sgpr_dispatch_ptr 0
		.amdhsa_user_sgpr_queue_ptr 0
		.amdhsa_user_sgpr_kernarg_segment_ptr 1
		.amdhsa_user_sgpr_dispatch_id 0
		.amdhsa_user_sgpr_flat_scratch_init 0
		.amdhsa_user_sgpr_private_segment_size 0
		.amdhsa_uses_dynamic_stack 0
		.amdhsa_system_sgpr_private_segment_wavefront_offset 0
		.amdhsa_system_sgpr_workgroup_id_x 1
		.amdhsa_system_sgpr_workgroup_id_y 0
		.amdhsa_system_sgpr_workgroup_id_z 0
		.amdhsa_system_sgpr_workgroup_info 0
		.amdhsa_system_vgpr_workitem_id 0
		.amdhsa_next_free_vgpr 183
		.amdhsa_next_free_sgpr 32
		.amdhsa_reserve_vcc 1
		.amdhsa_reserve_flat_scratch 0
		.amdhsa_float_round_mode_32 0
		.amdhsa_float_round_mode_16_64 0
		.amdhsa_float_denorm_mode_32 3
		.amdhsa_float_denorm_mode_16_64 3
		.amdhsa_dx10_clamp 1
		.amdhsa_ieee_mode 1
		.amdhsa_fp16_overflow 0
		.amdhsa_exception_fp_ieee_invalid_op 0
		.amdhsa_exception_fp_denorm_src 0
		.amdhsa_exception_fp_ieee_div_zero 0
		.amdhsa_exception_fp_ieee_overflow 0
		.amdhsa_exception_fp_ieee_underflow 0
		.amdhsa_exception_fp_ieee_inexact 0
		.amdhsa_exception_int_div_zero 0
	.end_amdhsa_kernel
	.text
.Lfunc_end0:
	.size	fft_rtc_fwd_len1890_factors_2_3_3_3_7_5_wgs_126_tpt_126_halfLds_dp_op_CI_CI_unitstride_sbrr_R2C_dirReg, .Lfunc_end0-fft_rtc_fwd_len1890_factors_2_3_3_3_7_5_wgs_126_tpt_126_halfLds_dp_op_CI_CI_unitstride_sbrr_R2C_dirReg
                                        ; -- End function
	.section	.AMDGPU.csdata,"",@progbits
; Kernel info:
; codeLenInByte = 15244
; NumSgprs: 36
; NumVgprs: 183
; ScratchSize: 0
; MemoryBound: 0
; FloatMode: 240
; IeeeMode: 1
; LDSByteSize: 0 bytes/workgroup (compile time only)
; SGPRBlocks: 4
; VGPRBlocks: 45
; NumSGPRsForWavesPerEU: 36
; NumVGPRsForWavesPerEU: 183
; Occupancy: 1
; WaveLimiterHint : 1
; COMPUTE_PGM_RSRC2:SCRATCH_EN: 0
; COMPUTE_PGM_RSRC2:USER_SGPR: 6
; COMPUTE_PGM_RSRC2:TRAP_HANDLER: 0
; COMPUTE_PGM_RSRC2:TGID_X_EN: 1
; COMPUTE_PGM_RSRC2:TGID_Y_EN: 0
; COMPUTE_PGM_RSRC2:TGID_Z_EN: 0
; COMPUTE_PGM_RSRC2:TIDIG_COMP_CNT: 0
	.type	__hip_cuid_d74ad493ef3184e2,@object ; @__hip_cuid_d74ad493ef3184e2
	.section	.bss,"aw",@nobits
	.globl	__hip_cuid_d74ad493ef3184e2
__hip_cuid_d74ad493ef3184e2:
	.byte	0                               ; 0x0
	.size	__hip_cuid_d74ad493ef3184e2, 1

	.ident	"AMD clang version 19.0.0git (https://github.com/RadeonOpenCompute/llvm-project roc-6.4.0 25133 c7fe45cf4b819c5991fe208aaa96edf142730f1d)"
	.section	".note.GNU-stack","",@progbits
	.addrsig
	.addrsig_sym __hip_cuid_d74ad493ef3184e2
	.amdgpu_metadata
---
amdhsa.kernels:
  - .args:
      - .actual_access:  read_only
        .address_space:  global
        .offset:         0
        .size:           8
        .value_kind:     global_buffer
      - .offset:         8
        .size:           8
        .value_kind:     by_value
      - .actual_access:  read_only
        .address_space:  global
        .offset:         16
        .size:           8
        .value_kind:     global_buffer
      - .actual_access:  read_only
        .address_space:  global
        .offset:         24
        .size:           8
        .value_kind:     global_buffer
      - .actual_access:  read_only
        .address_space:  global
        .offset:         32
        .size:           8
        .value_kind:     global_buffer
      - .offset:         40
        .size:           8
        .value_kind:     by_value
      - .actual_access:  read_only
        .address_space:  global
        .offset:         48
        .size:           8
        .value_kind:     global_buffer
      - .actual_access:  read_only
        .address_space:  global
        .offset:         56
        .size:           8
        .value_kind:     global_buffer
      - .offset:         64
        .size:           4
        .value_kind:     by_value
      - .actual_access:  read_only
        .address_space:  global
        .offset:         72
        .size:           8
        .value_kind:     global_buffer
      - .actual_access:  read_only
        .address_space:  global
        .offset:         80
        .size:           8
        .value_kind:     global_buffer
      - .actual_access:  read_only
        .address_space:  global
        .offset:         88
        .size:           8
        .value_kind:     global_buffer
      - .actual_access:  write_only
        .address_space:  global
        .offset:         96
        .size:           8
        .value_kind:     global_buffer
    .group_segment_fixed_size: 0
    .kernarg_segment_align: 8
    .kernarg_segment_size: 104
    .language:       OpenCL C
    .language_version:
      - 2
      - 0
    .max_flat_workgroup_size: 126
    .name:           fft_rtc_fwd_len1890_factors_2_3_3_3_7_5_wgs_126_tpt_126_halfLds_dp_op_CI_CI_unitstride_sbrr_R2C_dirReg
    .private_segment_fixed_size: 0
    .sgpr_count:     36
    .sgpr_spill_count: 0
    .symbol:         fft_rtc_fwd_len1890_factors_2_3_3_3_7_5_wgs_126_tpt_126_halfLds_dp_op_CI_CI_unitstride_sbrr_R2C_dirReg.kd
    .uniform_work_group_size: 1
    .uses_dynamic_stack: false
    .vgpr_count:     183
    .vgpr_spill_count: 0
    .wavefront_size: 64
amdhsa.target:   amdgcn-amd-amdhsa--gfx906
amdhsa.version:
  - 1
  - 2
...

	.end_amdgpu_metadata
